;; amdgpu-corpus repo=ROCm/rocFFT kind=compiled arch=gfx1030 opt=O3
	.text
	.amdgcn_target "amdgcn-amd-amdhsa--gfx1030"
	.amdhsa_code_object_version 6
	.protected	bluestein_single_back_len3600_dim1_half_op_CI_CI ; -- Begin function bluestein_single_back_len3600_dim1_half_op_CI_CI
	.globl	bluestein_single_back_len3600_dim1_half_op_CI_CI
	.p2align	8
	.type	bluestein_single_back_len3600_dim1_half_op_CI_CI,@function
bluestein_single_back_len3600_dim1_half_op_CI_CI: ; @bluestein_single_back_len3600_dim1_half_op_CI_CI
; %bb.0:
	s_load_dwordx4 s[12:15], s[4:5], 0x28
	v_mul_u32_u24_e32 v1, 0x223, v0
	v_mov_b32_e32 v65, 0
	s_mov_b32 s0, exec_lo
	v_lshrrev_b32_e32 v1, 16, v1
	v_add_nc_u32_e32 v64, s6, v1
	s_waitcnt lgkmcnt(0)
	v_cmpx_gt_u64_e64 s[12:13], v[64:65]
	s_cbranch_execz .LBB0_2
; %bb.1:
	s_clause 0x1
	s_load_dwordx4 s[8:11], s[4:5], 0x18
	s_load_dwordx4 s[0:3], s[4:5], 0x0
	v_mul_lo_u16 v1, 0x78, v1
	s_load_dwordx2 s[4:5], s[4:5], 0x38
	v_sub_nc_u16 v12, v0, v1
	v_and_b32_e32 v113, 0xffff, v12
	v_lshlrev_b32_e32 v118, 2, v113
	v_or_b32_e32 v88, 0x780, v113
	s_waitcnt lgkmcnt(0)
	s_load_dwordx4 s[16:19], s[8:9], 0x0
	s_add_u32 s6, s0, 0x3840
	v_add_co_u32 v21, s7, s0, v118
	v_add_co_ci_u32_e64 v22, null, s1, 0, s7
	s_addc_u32 s7, s1, 0
	v_add_co_u32 v0, vcc_lo, 0x800, v21
	v_add_co_ci_u32_e32 v1, vcc_lo, 0, v22, vcc_lo
	v_add_co_u32 v2, vcc_lo, 0x1000, v21
	v_add_co_ci_u32_e32 v3, vcc_lo, 0, v22, vcc_lo
	;; [unrolled: 2-line block ×3, first 2 shown]
	v_add_co_u32 v10, vcc_lo, 0x2000, v21
	s_waitcnt lgkmcnt(0)
	v_mad_u64_u32 v[4:5], null, s18, v64, 0
	v_mad_u64_u32 v[6:7], null, s16, v113, 0
	;; [unrolled: 1-line block ×3, first 2 shown]
	v_add_co_ci_u32_e32 v11, vcc_lo, 0, v22, vcc_lo
	s_mul_i32 s8, s17, 0x5a0
	s_mul_hi_u32 s12, s16, 0x5a0
	v_mad_u64_u32 v[15:16], null, s19, v64, v[5:6]
	v_mad_u64_u32 v[16:17], null, s17, v113, v[7:8]
	v_add_co_u32 v17, vcc_lo, 0x2800, v21
	v_add_co_ci_u32_e32 v18, vcc_lo, 0, v22, vcc_lo
	v_mov_b32_e32 v5, v15
	v_mad_u64_u32 v[14:15], null, s17, v88, v[14:15]
	v_mov_b32_e32 v7, v16
	s_mul_i32 s9, s16, 0x5a0
	v_lshlrev_b64 v[4:5], 2, v[4:5]
	s_add_i32 s8, s12, s8
	s_clause 0x1
	global_load_dword v120, v118, s[0:1]
	global_load_dword v119, v118, s[0:1] offset:1440
	v_lshlrev_b64 v[6:7], 2, v[6:7]
	v_lshlrev_b32_e32 v65, 2, v88
	s_clause 0x1
	global_load_dword v115, v[0:1], off offset:832
	global_load_dword v114, v[2:3], off offset:224
	v_add_co_u32 v15, vcc_lo, s14, v4
	v_add_co_ci_u32_e32 v16, vcc_lo, s15, v5, vcc_lo
	global_load_dword v92, v65, s[0:1]
	v_add_co_u32 v4, vcc_lo, v15, v6
	v_add_co_ci_u32_e32 v5, vcc_lo, v16, v7, vcc_lo
	v_lshlrev_b64 v[6:7], 2, v[13:14]
	v_add_co_u32 v13, vcc_lo, v4, s9
	v_add_co_ci_u32_e32 v14, vcc_lo, s8, v5, vcc_lo
	global_load_dword v25, v[4:5], off
	v_add_co_u32 v6, vcc_lo, v15, v6
	v_add_co_ci_u32_e32 v7, vcc_lo, v16, v7, vcc_lo
	v_add_co_u32 v15, vcc_lo, v13, s9
	v_add_co_ci_u32_e32 v16, vcc_lo, s8, v14, vcc_lo
	s_clause 0x1
	global_load_dword v26, v[6:7], off
	global_load_dword v27, v[13:14], off
	v_add_co_u32 v4, vcc_lo, v15, s9
	v_add_co_ci_u32_e32 v5, vcc_lo, s8, v16, vcc_lo
	global_load_dword v28, v[15:16], off
	v_add_co_u32 v6, vcc_lo, v4, s9
	v_add_co_ci_u32_e32 v7, vcc_lo, s8, v5, vcc_lo
	global_load_dword v29, v[4:5], off
	v_add_co_u32 v13, vcc_lo, v6, s9
	global_load_dword v30, v[6:7], off
	v_add_co_ci_u32_e32 v14, vcc_lo, s8, v7, vcc_lo
	v_add_co_u32 v19, vcc_lo, v13, s9
	s_clause 0x1
	global_load_dword v109, v[2:3], off offset:1664
	global_load_dword v108, v[8:9], off offset:1056
	global_load_dword v31, v[13:14], off
	v_add_co_ci_u32_e32 v20, vcc_lo, s8, v14, vcc_lo
	v_add_co_u32 v15, vcc_lo, v19, s9
	s_mul_i32 s12, s17, 0xffffcf40
	v_add_co_ci_u32_e32 v16, vcc_lo, s8, v20, vcc_lo
	v_add_co_u32 v4, vcc_lo, v15, s9
	s_sub_i32 s12, s12, s16
	v_add_co_ci_u32_e32 v5, vcc_lo, s8, v16, vcc_lo
	v_add_co_u32 v6, vcc_lo, v4, s9
	s_clause 0x1
	global_load_dword v106, v[10:11], off offset:448
	global_load_dword v105, v[10:11], off offset:1888
	v_add_co_ci_u32_e32 v7, vcc_lo, s8, v5, vcc_lo
	v_add_co_u32 v21, vcc_lo, 0x3000, v21
	v_add_co_ci_u32_e32 v22, vcc_lo, 0, v22, vcc_lo
	v_mad_u64_u32 v[13:14], null, 0xffffcf40, s16, v[6:7]
	global_load_dword v32, v[19:20], off
	global_load_dword v104, v[17:18], off offset:1280
	global_load_dword v33, v[15:16], off
	global_load_dword v34, v[4:5], off
	;; [unrolled: 1-line block ×3, first 2 shown]
	global_load_dword v103, v[21:22], off offset:672
	v_add_nc_u32_e32 v102, 0x600, v118
	v_add_nc_u32_e32 v14, s12, v14
	v_add_co_u32 v15, vcc_lo, v13, s9
	global_load_dword v36, v[13:14], off
	global_load_dword v101, v118, s[0:1] offset:480
	v_add_co_ci_u32_e32 v16, vcc_lo, s8, v14, vcc_lo
	v_add_co_u32 v19, vcc_lo, v15, s9
	global_load_dword v15, v[15:16], off
	global_load_dword v100, v118, s[0:1] offset:1920
	v_add_co_ci_u32_e32 v20, vcc_lo, s8, v16, vcc_lo
	v_add_co_u32 v4, vcc_lo, v19, s9
	v_add_nc_u32_e32 v69, 0xc00, v118
	v_add_co_ci_u32_e32 v5, vcc_lo, s8, v20, vcc_lo
	v_add_co_u32 v6, vcc_lo, v4, s9
	global_load_dword v16, v[19:20], off
	s_clause 0x1
	global_load_dword v98, v[0:1], off offset:1312
	global_load_dword v97, v[2:3], off offset:704
	global_load_dword v19, v[4:5], off
	v_add_co_ci_u32_e32 v7, vcc_lo, s8, v5, vcc_lo
	global_load_dword v95, v[8:9], off offset:96
	v_add_nc_u32_e32 v99, 0x1200, v118
	v_add_nc_u32_e32 v68, 0x1800, v118
	v_mad_u64_u32 v[23:24], null, 0xb40, s16, v[6:7]
	global_load_dword v20, v[6:7], off
	v_add_nc_u32_e32 v96, 0x1c00, v118
	v_add_nc_u32_e32 v121, 0xa00, v118
	;; [unrolled: 1-line block ×5, first 2 shown]
	v_mov_b32_e32 v13, v24
	v_add_co_u32 v4, vcc_lo, v23, s9
	v_add_nc_u32_e32 v117, 0x1600, v118
	v_add_nc_u32_e32 v116, 0x1a00, v118
	v_mad_u64_u32 v[13:14], null, 0xb40, s17, v[13:14]
	v_add_nc_u32_e32 v94, 0x2800, v118
	v_add_nc_u32_e32 v111, 0x2000, v118
	;; [unrolled: 1-line block ×6, first 2 shown]
	v_mov_b32_e32 v24, v13
	v_add_nc_u32_e32 v90, 0x3400, v118
	v_add_co_ci_u32_e32 v5, vcc_lo, s8, v24, vcc_lo
	v_add_co_u32 v6, vcc_lo, v4, s9
	global_load_dword v23, v[23:24], off
	v_add_co_ci_u32_e32 v7, vcc_lo, s8, v5, vcc_lo
	v_add_co_u32 v13, vcc_lo, v6, s9
	s_clause 0x1
	global_load_dword v93, v[10:11], off offset:928
	global_load_dword v91, v[17:18], off offset:320
	global_load_dword v24, v[4:5], off
	v_add_co_ci_u32_e32 v14, vcc_lo, s8, v7, vcc_lo
	global_load_dword v6, v[6:7], off
	global_load_dword v89, v[17:18], off offset:1760
	v_mad_u64_u32 v[4:5], null, 0xffffcf40, s16, v[13:14]
	v_add_nc_u32_e32 v5, s12, v5
	global_load_dword v7, v[13:14], off
	s_clause 0x2
	global_load_dword v86, v118, s[0:1] offset:960
	global_load_dword v87, v[21:22], off offset:1152
	global_load_dword v84, v[0:1], off offset:1792
	global_load_dword v13, v[4:5], off
	v_add_co_u32 v4, vcc_lo, v4, s9
	global_load_dword v85, v[0:1], off offset:352
	v_add_co_ci_u32_e32 v5, vcc_lo, s8, v5, vcc_lo
	v_add_co_u32 v0, vcc_lo, v4, s9
	v_add_co_ci_u32_e32 v1, vcc_lo, s8, v5, vcc_lo
	global_load_dword v14, v[4:5], off
	v_add_co_u32 v4, vcc_lo, v0, s9
	v_add_co_ci_u32_e32 v5, vcc_lo, s8, v1, vcc_lo
	global_load_dword v37, v[0:1], off
	global_load_dword v38, v[4:5], off
	v_add_co_u32 v0, vcc_lo, v4, s9
	v_add_co_ci_u32_e32 v1, vcc_lo, s8, v5, vcc_lo
	global_load_dword v83, v[2:3], off offset:1184
	v_add_co_u32 v2, vcc_lo, v0, s9
	v_add_co_ci_u32_e32 v3, vcc_lo, s8, v1, vcc_lo
	global_load_dword v81, v[8:9], off offset:2016
	global_load_dword v4, v[0:1], off
	s_clause 0x1
	global_load_dword v82, v[8:9], off offset:576
	global_load_dword v80, v[10:11], off offset:1408
	global_load_dword v5, v[2:3], off
	v_add_co_u32 v0, vcc_lo, v2, s9
	v_add_co_ci_u32_e32 v1, vcc_lo, s8, v3, vcc_lo
	global_load_dword v79, v[17:18], off offset:800
	v_add_co_u32 v2, vcc_lo, v0, s9
	v_add_co_ci_u32_e32 v3, vcc_lo, s8, v1, vcc_lo
	global_load_dword v8, v[0:1], off
	v_add_co_u32 v0, vcc_lo, v2, s9
	v_add_co_ci_u32_e32 v1, vcc_lo, s8, v3, vcc_lo
	global_load_dword v9, v[2:3], off
	;; [unrolled: 3-line block ×3, first 2 shown]
	global_load_dword v1, v[2:3], off
	s_clause 0x1
	global_load_dword v77, v[21:22], off offset:1632
	global_load_dword v78, v[21:22], off offset:192
	s_load_dwordx4 s[8:11], s[10:11], 0x0
	v_cmp_gt_u16_e32 vcc_lo, 0x64, v12
	s_waitcnt vmcnt(54)
	v_lshrrev_b32_e32 v2, 16, v25
	v_mul_f16_sdwa v3, v120, v25 dst_sel:DWORD dst_unused:UNUSED_PAD src0_sel:WORD_1 src1_sel:DWORD
	v_mul_f16_sdwa v17, v120, v2 dst_sel:DWORD dst_unused:UNUSED_PAD src0_sel:WORD_1 src1_sel:DWORD
	v_fma_f16 v2, v120, v2, -v3
	s_waitcnt vmcnt(53)
	v_lshrrev_b32_e32 v10, 16, v26
	v_mul_f16_sdwa v11, v92, v26 dst_sel:DWORD dst_unused:UNUSED_PAD src0_sel:WORD_1 src1_sel:DWORD
	s_waitcnt vmcnt(52)
	v_lshrrev_b32_e32 v3, 16, v27
	v_mul_f16_sdwa v18, v119, v27 dst_sel:DWORD dst_unused:UNUSED_PAD src0_sel:WORD_1 src1_sel:DWORD
	v_fmac_f16_e32 v17, v120, v25
	v_mul_f16_sdwa v21, v92, v10 dst_sel:DWORD dst_unused:UNUSED_PAD src0_sel:WORD_1 src1_sel:DWORD
	v_fma_f16 v10, v92, v10, -v11
	v_mul_f16_sdwa v11, v119, v3 dst_sel:DWORD dst_unused:UNUSED_PAD src0_sel:WORD_1 src1_sel:DWORD
	v_fma_f16 v3, v119, v3, -v18
	s_waitcnt vmcnt(51)
	v_lshrrev_b32_e32 v18, 16, v28
	v_mul_f16_sdwa v22, v115, v28 dst_sel:DWORD dst_unused:UNUSED_PAD src0_sel:WORD_1 src1_sel:DWORD
	v_fmac_f16_e32 v21, v92, v26
	v_pack_b32_f16 v2, v17, v2
	v_fmac_f16_e32 v11, v119, v27
	v_mul_f16_sdwa v17, v115, v18 dst_sel:DWORD dst_unused:UNUSED_PAD src0_sel:WORD_1 src1_sel:DWORD
	v_fma_f16 v18, v115, v18, -v22
	s_waitcnt vmcnt(50)
	v_lshrrev_b32_e32 v22, 16, v29
	v_mul_f16_sdwa v25, v114, v29 dst_sel:DWORD dst_unused:UNUSED_PAD src0_sel:WORD_1 src1_sel:DWORD
	v_pack_b32_f16 v10, v21, v10
	v_pack_b32_f16 v3, v11, v3
	v_fmac_f16_e32 v17, v115, v28
	v_mul_f16_sdwa v11, v114, v22 dst_sel:DWORD dst_unused:UNUSED_PAD src0_sel:WORD_1 src1_sel:DWORD
	v_fma_f16 v21, v114, v22, -v25
	s_waitcnt vmcnt(49)
	v_lshrrev_b32_e32 v22, 16, v30
	s_waitcnt vmcnt(48)
	v_mul_f16_sdwa v25, v109, v30 dst_sel:DWORD dst_unused:UNUSED_PAD src0_sel:WORD_1 src1_sel:DWORD
	ds_write_b32 v118, v3 offset:1440
	v_pack_b32_f16 v3, v17, v18
	v_fmac_f16_e32 v11, v114, v29
	v_mul_f16_sdwa v17, v109, v22 dst_sel:DWORD dst_unused:UNUSED_PAD src0_sel:WORD_1 src1_sel:DWORD
	v_fma_f16 v18, v109, v22, -v25
	s_waitcnt vmcnt(46)
	v_lshrrev_b32_e32 v22, 16, v31
	v_mul_f16_sdwa v25, v108, v31 dst_sel:DWORD dst_unused:UNUSED_PAD src0_sel:WORD_1 src1_sel:DWORD
	ds_write_b32 v118, v3 offset:2880
	v_pack_b32_f16 v3, v11, v21
	v_fmac_f16_e32 v17, v109, v30
	v_mul_f16_sdwa v11, v108, v22 dst_sel:DWORD dst_unused:UNUSED_PAD src0_sel:WORD_1 src1_sel:DWORD
	v_fma_f16 v21, v108, v22, -v25
	ds_write_b32 v118, v3 offset:4320
	v_pack_b32_f16 v3, v17, v18
	v_fmac_f16_e32 v11, v108, v31
	s_waitcnt vmcnt(43)
	v_lshrrev_b32_e32 v22, 16, v32
	v_mul_f16_sdwa v25, v106, v32 dst_sel:DWORD dst_unused:UNUSED_PAD src0_sel:WORD_1 src1_sel:DWORD
	ds_write_b32 v118, v3 offset:5760
	v_pack_b32_f16 v3, v11, v21
	s_waitcnt vmcnt(40)
	v_lshrrev_b32_e32 v21, 16, v34
	v_mul_f16_sdwa v17, v106, v22 dst_sel:DWORD dst_unused:UNUSED_PAD src0_sel:WORD_1 src1_sel:DWORD
	v_fma_f16 v18, v106, v22, -v25
	v_lshrrev_b32_e32 v22, 16, v33
	v_mul_f16_sdwa v25, v105, v33 dst_sel:DWORD dst_unused:UNUSED_PAD src0_sel:WORD_1 src1_sel:DWORD
	ds_write_b32 v118, v3 offset:7200
	v_fmac_f16_e32 v17, v106, v32
	v_mul_f16_sdwa v11, v105, v22 dst_sel:DWORD dst_unused:UNUSED_PAD src0_sel:WORD_1 src1_sel:DWORD
	v_fma_f16 v22, v105, v22, -v25
	v_mul_f16_sdwa v25, v104, v34 dst_sel:DWORD dst_unused:UNUSED_PAD src0_sel:WORD_1 src1_sel:DWORD
	v_pack_b32_f16 v3, v17, v18
	v_mul_f16_sdwa v17, v104, v21 dst_sel:DWORD dst_unused:UNUSED_PAD src0_sel:WORD_1 src1_sel:DWORD
	s_waitcnt vmcnt(39)
	v_lshrrev_b32_e32 v18, 16, v35
	v_fmac_f16_e32 v11, v105, v33
	v_fma_f16 v21, v104, v21, -v25
	s_waitcnt vmcnt(38)
	v_mul_f16_sdwa v25, v103, v35 dst_sel:DWORD dst_unused:UNUSED_PAD src0_sel:WORD_1 src1_sel:DWORD
	v_fmac_f16_e32 v17, v104, v34
	v_mul_f16_sdwa v26, v103, v18 dst_sel:DWORD dst_unused:UNUSED_PAD src0_sel:WORD_1 src1_sel:DWORD
	ds_write_b32 v118, v3 offset:8640
	v_pack_b32_f16 v3, v11, v22
	v_fma_f16 v11, v103, v18, -v25
	v_pack_b32_f16 v17, v17, v21
	v_fmac_f16_e32 v26, v103, v35
	s_waitcnt vmcnt(37)
	v_lshrrev_b32_e32 v18, 16, v36
	ds_write_b32 v118, v3 offset:10080
	s_waitcnt vmcnt(36)
	v_mul_f16_sdwa v3, v101, v36 dst_sel:DWORD dst_unused:UNUSED_PAD src0_sel:WORD_1 src1_sel:DWORD
	ds_write_b32 v118, v17 offset:11520
	v_pack_b32_f16 v11, v26, v11
	v_mul_f16_sdwa v17, v101, v18 dst_sel:DWORD dst_unused:UNUSED_PAD src0_sel:WORD_1 src1_sel:DWORD
	s_waitcnt vmcnt(35)
	v_lshrrev_b32_e32 v21, 16, v15
	v_fma_f16 v3, v101, v18, -v3
	s_waitcnt vmcnt(34)
	v_mul_f16_sdwa v18, v100, v15 dst_sel:DWORD dst_unused:UNUSED_PAD src0_sel:WORD_1 src1_sel:DWORD
	ds_write_b32 v118, v11 offset:12960
	v_fmac_f16_e32 v17, v101, v36
	v_mul_f16_sdwa v11, v100, v21 dst_sel:DWORD dst_unused:UNUSED_PAD src0_sel:WORD_1 src1_sel:DWORD
	s_waitcnt vmcnt(33)
	v_lshrrev_b32_e32 v22, 16, v16
	v_fma_f16 v18, v100, v21, -v18
	s_waitcnt vmcnt(32)
	v_mul_f16_sdwa v21, v98, v16 dst_sel:DWORD dst_unused:UNUSED_PAD src0_sel:WORD_1 src1_sel:DWORD
	v_pack_b32_f16 v3, v17, v3
	v_fmac_f16_e32 v11, v100, v15
	s_waitcnt vmcnt(30)
	v_lshrrev_b32_e32 v17, 16, v19
	v_mul_f16_sdwa v15, v98, v22 dst_sel:DWORD dst_unused:UNUSED_PAD src0_sel:WORD_1 src1_sel:DWORD
	v_fma_f16 v21, v98, v22, -v21
	v_mul_f16_sdwa v22, v97, v19 dst_sel:DWORD dst_unused:UNUSED_PAD src0_sel:WORD_1 src1_sel:DWORD
	ds_write2_b32 v118, v2, v3 offset1:120
	v_pack_b32_f16 v2, v11, v18
	v_mul_f16_sdwa v3, v97, v17 dst_sel:DWORD dst_unused:UNUSED_PAD src0_sel:WORD_1 src1_sel:DWORD
	s_waitcnt vmcnt(28)
	v_lshrrev_b32_e32 v11, 16, v20
	v_fmac_f16_e32 v15, v98, v16
	v_fma_f16 v16, v97, v17, -v22
	v_mul_f16_sdwa v17, v95, v20 dst_sel:DWORD dst_unused:UNUSED_PAD src0_sel:WORD_1 src1_sel:DWORD
	v_fmac_f16_e32 v3, v97, v19
	v_mul_f16_sdwa v18, v95, v11 dst_sel:DWORD dst_unused:UNUSED_PAD src0_sel:WORD_1 src1_sel:DWORD
	v_pack_b32_f16 v15, v15, v21
	v_fma_f16 v11, v95, v11, -v17
	v_pack_b32_f16 v3, v3, v16
	v_fmac_f16_e32 v18, v95, v20
	s_waitcnt vmcnt(27)
	v_lshrrev_b32_e32 v19, 16, v23
	s_waitcnt vmcnt(26)
	v_mul_f16_sdwa v16, v93, v23 dst_sel:DWORD dst_unused:UNUSED_PAD src0_sel:WORD_1 src1_sel:DWORD
	v_pack_b32_f16 v11, v18, v11
	v_mul_f16_sdwa v17, v93, v19 dst_sel:DWORD dst_unused:UNUSED_PAD src0_sel:WORD_1 src1_sel:DWORD
	s_waitcnt vmcnt(24)
	v_lshrrev_b32_e32 v20, 16, v24
	v_mul_f16_sdwa v21, v91, v24 dst_sel:DWORD dst_unused:UNUSED_PAD src0_sel:WORD_1 src1_sel:DWORD
	v_fma_f16 v16, v93, v19, -v16
	v_fmac_f16_e32 v17, v93, v23
	v_mul_f16_sdwa v18, v91, v20 dst_sel:DWORD dst_unused:UNUSED_PAD src0_sel:WORD_1 src1_sel:DWORD
	v_fma_f16 v19, v91, v20, -v21
	s_waitcnt vmcnt(23)
	v_lshrrev_b32_e32 v20, 16, v6
	s_waitcnt vmcnt(22)
	v_mul_f16_sdwa v21, v89, v6 dst_sel:DWORD dst_unused:UNUSED_PAD src0_sel:WORD_1 src1_sel:DWORD
	v_pack_b32_f16 v16, v17, v16
	s_waitcnt vmcnt(21)
	v_lshrrev_b32_e32 v17, 16, v7
	v_fmac_f16_e32 v18, v91, v24
	v_mul_f16_sdwa v22, v89, v20 dst_sel:DWORD dst_unused:UNUSED_PAD src0_sel:WORD_1 src1_sel:DWORD
	v_fma_f16 v20, v89, v20, -v21
	s_waitcnt vmcnt(19)
	v_mul_f16_sdwa v21, v87, v7 dst_sel:DWORD dst_unused:UNUSED_PAD src0_sel:WORD_1 src1_sel:DWORD
	v_mul_f16_sdwa v23, v87, v17 dst_sel:DWORD dst_unused:UNUSED_PAD src0_sel:WORD_1 src1_sel:DWORD
	v_pack_b32_f16 v18, v18, v19
	v_fmac_f16_e32 v22, v89, v6
	s_waitcnt vmcnt(17)
	v_lshrrev_b32_e32 v6, 16, v13
	v_fma_f16 v17, v87, v17, -v21
	v_fmac_f16_e32 v23, v87, v7
	v_mul_f16_sdwa v7, v86, v13 dst_sel:DWORD dst_unused:UNUSED_PAD src0_sel:WORD_1 src1_sel:DWORD
	v_pack_b32_f16 v19, v22, v20
	v_mul_f16_sdwa v20, v86, v6 dst_sel:DWORD dst_unused:UNUSED_PAD src0_sel:WORD_1 src1_sel:DWORD
	s_waitcnt vmcnt(15)
	v_lshrrev_b32_e32 v21, 16, v14
	v_pack_b32_f16 v17, v23, v17
	v_fma_f16 v6, v86, v6, -v7
	v_mul_f16_sdwa v7, v85, v14 dst_sel:DWORD dst_unused:UNUSED_PAD src0_sel:WORD_1 src1_sel:DWORD
	v_fmac_f16_e32 v20, v86, v13
	v_mul_f16_sdwa v13, v85, v21 dst_sel:DWORD dst_unused:UNUSED_PAD src0_sel:WORD_1 src1_sel:DWORD
	s_waitcnt vmcnt(14)
	v_lshrrev_b32_e32 v22, 16, v37
	v_mul_f16_sdwa v23, v84, v37 dst_sel:DWORD dst_unused:UNUSED_PAD src0_sel:WORD_1 src1_sel:DWORD
	v_fma_f16 v7, v85, v21, -v7
	v_pack_b32_f16 v6, v20, v6
	v_fmac_f16_e32 v13, v85, v14
	v_mul_f16_sdwa v14, v84, v22 dst_sel:DWORD dst_unused:UNUSED_PAD src0_sel:WORD_1 src1_sel:DWORD
	v_fma_f16 v20, v84, v22, -v23
	s_waitcnt vmcnt(13)
	v_lshrrev_b32_e32 v21, 16, v38
	s_waitcnt vmcnt(12)
	v_mul_f16_sdwa v22, v83, v38 dst_sel:DWORD dst_unused:UNUSED_PAD src0_sel:WORD_1 src1_sel:DWORD
	ds_write_b32 v118, v6 offset:960
	v_pack_b32_f16 v6, v13, v7
	v_fmac_f16_e32 v14, v84, v37
	v_mul_f16_sdwa v7, v83, v21 dst_sel:DWORD dst_unused:UNUSED_PAD src0_sel:WORD_1 src1_sel:DWORD
	v_fma_f16 v13, v83, v21, -v22
	s_waitcnt vmcnt(10)
	v_lshrrev_b32_e32 v21, 16, v4
	s_waitcnt vmcnt(9)
	v_mul_f16_sdwa v22, v82, v4 dst_sel:DWORD dst_unused:UNUSED_PAD src0_sel:WORD_1 src1_sel:DWORD
	ds_write2_b32 v102, v2, v6 offset0:96 offset1:216
	v_pack_b32_f16 v2, v14, v20
	v_fmac_f16_e32 v7, v83, v38
	v_mul_f16_sdwa v6, v82, v21 dst_sel:DWORD dst_unused:UNUSED_PAD src0_sel:WORD_1 src1_sel:DWORD
	v_fma_f16 v14, v82, v21, -v22
	s_waitcnt vmcnt(7)
	v_lshrrev_b32_e32 v20, 16, v5
	ds_write2_b32 v69, v15, v2 offset0:72 offset1:192
	v_pack_b32_f16 v2, v7, v13
	v_fmac_f16_e32 v6, v82, v4
	s_waitcnt vmcnt(5)
	v_lshrrev_b32_e32 v13, 16, v8
	v_mul_f16_sdwa v4, v81, v20 dst_sel:DWORD dst_unused:UNUSED_PAD src0_sel:WORD_1 src1_sel:DWORD
	v_mul_f16_sdwa v15, v80, v8 dst_sel:DWORD dst_unused:UNUSED_PAD src0_sel:WORD_1 src1_sel:DWORD
	ds_write2_b32 v99, v3, v2 offset0:48 offset1:168
	v_pack_b32_f16 v2, v6, v14
	v_mul_f16_sdwa v3, v80, v13 dst_sel:DWORD dst_unused:UNUSED_PAD src0_sel:WORD_1 src1_sel:DWORD
	s_waitcnt vmcnt(4)
	v_lshrrev_b32_e32 v6, 16, v9
	v_mul_f16_sdwa v21, v81, v5 dst_sel:DWORD dst_unused:UNUSED_PAD src0_sel:WORD_1 src1_sel:DWORD
	v_fmac_f16_e32 v4, v81, v5
	v_fma_f16 v5, v80, v13, -v15
	v_mul_f16_sdwa v13, v79, v9 dst_sel:DWORD dst_unused:UNUSED_PAD src0_sel:WORD_1 src1_sel:DWORD
	ds_write2_b32 v68, v11, v2 offset0:24 offset1:144
	s_waitcnt vmcnt(3)
	v_lshrrev_b32_e32 v2, 16, v0
	s_waitcnt vmcnt(2)
	v_lshrrev_b32_e32 v11, 16, v1
	v_fmac_f16_e32 v3, v80, v8
	v_mul_f16_sdwa v8, v79, v6 dst_sel:DWORD dst_unused:UNUSED_PAD src0_sel:WORD_1 src1_sel:DWORD
	v_fma_f16 v6, v79, v6, -v13
	s_waitcnt vmcnt(0)
	v_mul_f16_sdwa v13, v78, v0 dst_sel:DWORD dst_unused:UNUSED_PAD src0_sel:WORD_1 src1_sel:DWORD
	v_mul_f16_sdwa v14, v78, v2 dst_sel:DWORD dst_unused:UNUSED_PAD src0_sel:WORD_1 src1_sel:DWORD
	v_fma_f16 v7, v81, v20, -v21
	v_mul_f16_sdwa v15, v77, v1 dst_sel:DWORD dst_unused:UNUSED_PAD src0_sel:WORD_1 src1_sel:DWORD
	v_mul_f16_sdwa v20, v77, v11 dst_sel:DWORD dst_unused:UNUSED_PAD src0_sel:WORD_1 src1_sel:DWORD
	v_fmac_f16_e32 v8, v79, v9
	v_fma_f16 v2, v78, v2, -v13
	v_fmac_f16_e32 v14, v78, v0
	v_fma_f16 v0, v77, v11, -v15
	v_fmac_f16_e32 v20, v77, v1
	v_pack_b32_f16 v1, v4, v7
	v_pack_b32_f16 v3, v3, v5
	;; [unrolled: 1-line block ×5, first 2 shown]
	ds_write2_b32 v96, v10, v1 offset0:128 offset1:248
	ds_write2_b32 v67, v16, v3 offset0:104 offset1:224
	;; [unrolled: 1-line block ×5, first 2 shown]
	s_waitcnt lgkmcnt(0)
	s_barrier
	buffer_gl0_inv
	ds_read2_b32 v[2:3], v118 offset1:120
	ds_read2_b32 v[0:1], v123 offset0:112 offset1:232
	ds_read2_b32 v[10:11], v121 offset0:80 offset1:200
	;; [unrolled: 1-line block ×14, first 2 shown]
	s_waitcnt lgkmcnt(0)
	s_barrier
	buffer_gl0_inv
	v_sub_f16_e32 v23, v53, v55
	v_sub_f16_e32 v154, v55, v53
	v_sub_f16_sdwa v17, v53, v55 dst_sel:DWORD dst_unused:UNUSED_PAD src0_sel:WORD_1 src1_sel:WORD_1
	v_sub_f16_sdwa v16, v55, v53 dst_sel:DWORD dst_unused:UNUSED_PAD src0_sel:WORD_1 src1_sel:WORD_1
	v_sub_f16_e32 v142, v9, v11
	v_add_f16_e32 v140, v9, v7
	v_add_f16_e32 v141, v11, v5
	v_sub_f16_e32 v143, v7, v5
	v_sub_f16_e32 v165, v70, v61
	;; [unrolled: 1-line block ×3, first 2 shown]
	v_add_f16_e32 v171, v61, v74
	v_lshrrev_b32_e32 v174, 16, v125
	v_lshrrev_b32_e32 v14, 16, v3
	;; [unrolled: 1-line block ×3, first 2 shown]
	v_add_f16_e32 v76, v2, v10
	v_add_f16_e32 v139, v3, v11
	v_lshrrev_b32_e32 v28, 16, v124
	v_add_f16_sdwa v167, v70, v72 dst_sel:DWORD dst_unused:UNUSED_PAD src0_sel:WORD_1 src1_sel:WORD_1
	v_add_f16_sdwa v168, v61, v74 dst_sel:DWORD dst_unused:UNUSED_PAD src0_sel:WORD_1 src1_sel:WORD_1
	v_sub_f16_sdwa v49, v70, v72 dst_sel:DWORD dst_unused:UNUSED_PAD src0_sel:WORD_1 src1_sel:WORD_1
	v_add_f16_e32 v173, v125, v62
	v_sub_f16_e32 v43, v62, v71
	v_sub_f16_e32 v179, v71, v62
	v_sub_f16_sdwa v48, v62, v71 dst_sel:DWORD dst_unused:UNUSED_PAD src0_sel:WORD_1 src1_sel:WORD_1
	v_sub_f16_sdwa v181, v71, v62 dst_sel:DWORD dst_unused:UNUSED_PAD src0_sel:WORD_1 src1_sel:WORD_1
	v_sub_f16_sdwa v182, v62, v75 dst_sel:DWORD dst_unused:UNUSED_PAD src0_sel:WORD_1 src1_sel:WORD_1
	v_add_f16_e32 v183, v62, v75
	v_sub_f16_e32 v184, v62, v75
	v_add_f16_sdwa v185, v62, v75 dst_sel:DWORD dst_unused:UNUSED_PAD src0_sel:WORD_1 src1_sel:WORD_1
	v_fma_f16 v140, -0.5, v140, v3
	v_fmac_f16_e32 v3, -0.5, v141
	v_add_f16_e32 v141, v142, v143
	v_add_f16_e32 v142, v165, v166
	v_add_f16_sdwa v62, v174, v62 dst_sel:DWORD dst_unused:UNUSED_PAD src0_sel:DWORD src1_sel:WORD_1
	v_fma_f16 v166, -0.5, v171, v124
	v_lshrrev_b32_e32 v27, 16, v2
	v_sub_f16_sdwa v29, v11, v5 dst_sel:DWORD dst_unused:UNUSED_PAD src0_sel:WORD_1 src1_sel:WORD_1
	v_sub_f16_e32 v39, v11, v9
	v_sub_f16_sdwa v33, v11, v9 dst_sel:DWORD dst_unused:UNUSED_PAD src0_sel:WORD_1 src1_sel:WORD_1
	v_sub_f16_sdwa v32, v9, v11 dst_sel:DWORD dst_unused:UNUSED_PAD src0_sel:WORD_1 src1_sel:WORD_1
	v_sub_f16_e32 v30, v11, v5
	v_add_f16_sdwa v38, v11, v5 dst_sel:DWORD dst_unused:UNUSED_PAD src0_sel:WORD_1 src1_sel:WORD_1
	v_add_f16_e32 v144, v0, v53
	v_sub_f16_sdwa v20, v53, v59 dst_sel:DWORD dst_unused:UNUSED_PAD src0_sel:WORD_1 src1_sel:WORD_1
	v_add_f16_e32 v159, v53, v59
	v_sub_f16_e32 v18, v53, v59
	v_add_f16_sdwa v24, v53, v59 dst_sel:DWORD dst_unused:UNUSED_PAD src0_sel:WORD_1 src1_sel:WORD_1
	v_sub_f16_sdwa v169, v70, v61 dst_sel:DWORD dst_unused:UNUSED_PAD src0_sel:WORD_1 src1_sel:WORD_1
	v_sub_f16_e32 v45, v70, v72
	v_sub_f16_sdwa v52, v61, v74 dst_sel:DWORD dst_unused:UNUSED_PAD src0_sel:WORD_1 src1_sel:WORD_1
	v_sub_f16_e32 v50, v61, v74
	v_add_f16_e32 v172, v124, v61
	v_sub_f16_e32 v176, v61, v70
	v_sub_f16_sdwa v177, v61, v70 dst_sel:DWORD dst_unused:UNUSED_PAD src0_sel:WORD_1 src1_sel:WORD_1
	v_add_f16_e32 v178, v71, v73
	v_sub_f16_sdwa v41, v71, v73 dst_sel:DWORD dst_unused:UNUSED_PAD src0_sel:WORD_1 src1_sel:WORD_1
	v_add_f16_sdwa v180, v71, v73 dst_sel:DWORD dst_unused:UNUSED_PAD src0_sel:WORD_1 src1_sel:WORD_1
	v_sub_f16_e32 v42, v71, v73
	v_add_f16_sdwa v11, v14, v11 dst_sel:DWORD dst_unused:UNUSED_PAD src0_sel:DWORD src1_sel:WORD_1
	v_add_f16_e32 v76, v76, v8
	v_add_f16_sdwa v53, v13, v53 dst_sel:DWORD dst_unused:UNUSED_PAD src0_sel:DWORD src1_sel:WORD_1
	v_fma_f16 v143, -0.5, v167, v28
	v_add_f16_sdwa v61, v28, v61 dst_sel:DWORD dst_unused:UNUSED_PAD src0_sel:DWORD src1_sel:WORD_1
	v_fmac_f16_e32 v28, -0.5, v168
	v_add_f16_e32 v167, v173, v71
	v_add_f16_sdwa v62, v62, v71 dst_sel:DWORD dst_unused:UNUSED_PAD src0_sel:DWORD src1_sel:WORD_1
	v_fmamk_f16 v71, v49, 0xbb9c, v166
	v_fmac_f16_e32 v166, 0x3b9c, v49
	v_add_f16_e32 v126, v8, v6
	v_sub_f16_sdwa v46, v10, v4 dst_sel:DWORD dst_unused:UNUSED_PAD src0_sel:WORD_1 src1_sel:WORD_1
	v_sub_f16_e32 v127, v10, v8
	v_add_f16_e32 v129, v10, v4
	v_sub_f16_e32 v130, v8, v10
	v_sub_f16_e32 v51, v10, v4
	v_sub_f16_sdwa v133, v10, v8 dst_sel:DWORD dst_unused:UNUSED_PAD src0_sel:WORD_1 src1_sel:WORD_1
	v_add_f16_sdwa v135, v10, v4 dst_sel:DWORD dst_unused:UNUSED_PAD src0_sel:WORD_1 src1_sel:WORD_1
	v_sub_f16_sdwa v136, v8, v10 dst_sel:DWORD dst_unused:UNUSED_PAD src0_sel:WORD_1 src1_sel:WORD_1
	v_add_f16_e32 v138, v1, v54
	v_sub_f16_sdwa v37, v9, v7 dst_sel:DWORD dst_unused:UNUSED_PAD src0_sel:WORD_1 src1_sel:WORD_1
	v_add_f16_sdwa v36, v9, v7 dst_sel:DWORD dst_unused:UNUSED_PAD src0_sel:WORD_1 src1_sel:WORD_1
	v_sub_f16_e32 v31, v9, v7
	v_sub_f16_sdwa v170, v72, v74 dst_sel:DWORD dst_unused:UNUSED_PAD src0_sel:WORD_1 src1_sel:WORD_1
	v_add_f16_sdwa v10, v27, v10 dst_sel:DWORD dst_unused:UNUSED_PAD src0_sel:DWORD src1_sel:WORD_1
	v_add_f16_e32 v139, v139, v9
	v_add_f16_sdwa v9, v11, v9 dst_sel:DWORD dst_unused:UNUSED_PAD src0_sel:DWORD src1_sel:WORD_1
	v_add_f16_sdwa v11, v53, v55 dst_sel:DWORD dst_unused:UNUSED_PAD src0_sel:DWORD src1_sel:WORD_1
	v_add_f16_e32 v53, v76, v6
	v_fmamk_f16 v76, v45, 0x3b9c, v28
	v_fmac_f16_e32 v28, 0xbb9c, v45
	v_fmac_f16_e32 v166, 0xb8b4, v52
	v_lshrrev_b32_e32 v63, 16, v1
	v_sub_f16_sdwa v44, v8, v6 dst_sel:DWORD dst_unused:UNUSED_PAD src0_sel:WORD_1 src1_sel:WORD_1
	v_add_f16_sdwa v132, v8, v6 dst_sel:DWORD dst_unused:UNUSED_PAD src0_sel:WORD_1 src1_sel:WORD_1
	v_sub_f16_e32 v47, v8, v6
	v_add_f16_e32 v175, v70, v72
	v_add_f16_e32 v138, v138, v56
	;; [unrolled: 1-line block ×3, first 2 shown]
	v_fma_f16 v126, -0.5, v126, v2
	v_fma_f16 v129, -0.5, v129, v2
	v_add_f16_e32 v2, v172, v70
	v_add_f16_sdwa v8, v10, v8 dst_sel:DWORD dst_unused:UNUSED_PAD src0_sel:DWORD src1_sel:WORD_1
	v_add_f16_sdwa v61, v61, v70 dst_sel:DWORD dst_unused:UNUSED_PAD src0_sel:DWORD src1_sel:WORD_1
	v_fmamk_f16 v70, v37, 0xbb9c, v3
	v_fmac_f16_e32 v3, 0x3b9c, v37
	v_fmac_f16_e32 v28, 0x38b4, v50
	;; [unrolled: 1-line block ×3, first 2 shown]
	v_sub_f16_e32 v128, v4, v6
	v_sub_f16_e32 v131, v6, v4
	v_sub_f16_sdwa v134, v4, v6 dst_sel:DWORD dst_unused:UNUSED_PAD src0_sel:WORD_1 src1_sel:WORD_1
	v_sub_f16_sdwa v137, v6, v4 dst_sel:DWORD dst_unused:UNUSED_PAD src0_sel:WORD_1 src1_sel:WORD_1
	v_sub_f16_e32 v147, v54, v56
	v_sub_f16_e32 v148, v56, v54
	v_sub_f16_sdwa v151, v54, v56 dst_sel:DWORD dst_unused:UNUSED_PAD src0_sel:WORD_1 src1_sel:WORD_1
	v_sub_f16_sdwa v152, v56, v54 dst_sel:DWORD dst_unused:UNUSED_PAD src0_sel:WORD_1 src1_sel:WORD_1
	v_add_f16_e32 v153, v55, v57
	v_sub_f16_sdwa v21, v55, v57 dst_sel:DWORD dst_unused:UNUSED_PAD src0_sel:WORD_1 src1_sel:WORD_1
	v_add_f16_sdwa v19, v55, v57 dst_sel:DWORD dst_unused:UNUSED_PAD src0_sel:WORD_1 src1_sel:WORD_1
	v_sub_f16_e32 v15, v55, v57
	v_sub_f16_sdwa v155, v54, v60 dst_sel:DWORD dst_unused:UNUSED_PAD src0_sel:WORD_1 src1_sel:WORD_1
	v_add_f16_e32 v156, v54, v60
	v_sub_f16_e32 v157, v54, v60
	v_add_f16_sdwa v158, v54, v60 dst_sel:DWORD dst_unused:UNUSED_PAD src0_sel:WORD_1 src1_sel:WORD_1
	v_add_f16_sdwa v54, v63, v54 dst_sel:DWORD dst_unused:UNUSED_PAD src0_sel:DWORD src1_sel:WORD_1
	v_add_f16_e32 v144, v144, v55
	v_add_f16_e32 v55, v138, v58
	;; [unrolled: 1-line block ×3, first 2 shown]
	v_add_f16_sdwa v2, v8, v6 dst_sel:DWORD dst_unused:UNUSED_PAD src0_sel:DWORD src1_sel:WORD_1
	v_add_f16_sdwa v6, v9, v7 dst_sel:DWORD dst_unused:UNUSED_PAD src0_sel:DWORD src1_sel:WORD_1
	;; [unrolled: 1-line block ×3, first 2 shown]
	v_fmac_f16_e32 v3, 0xb8b4, v29
	v_fmac_f16_e32 v28, 0x34f2, v165
	v_mul_f16_e32 v11, 0xb4f2, v166
	v_add_f16_e32 v145, v56, v58
	v_sub_f16_sdwa v146, v56, v58 dst_sel:DWORD dst_unused:UNUSED_PAD src0_sel:WORD_1 src1_sel:WORD_1
	v_add_f16_sdwa v149, v56, v58 dst_sel:DWORD dst_unused:UNUSED_PAD src0_sel:WORD_1 src1_sel:WORD_1
	v_sub_f16_e32 v150, v56, v58
	v_fma_f16 v168, -0.5, v180, v174
	v_add_f16_sdwa v10, v54, v56 dst_sel:DWORD dst_unused:UNUSED_PAD src0_sel:DWORD src1_sel:WORD_1
	v_add_f16_e32 v54, v139, v7
	v_add_f16_e32 v56, v144, v57
	v_fmac_f16_e32 v3, 0x34f2, v141
	v_fmac_f16_e32 v11, 0x3b9c, v28
	v_fmac_f16_e32 v174, -0.5, v185
	v_sub_f16_e32 v40, v5, v7
	v_sub_f16_sdwa v35, v5, v7 dst_sel:DWORD dst_unused:UNUSED_PAD src0_sel:WORD_1 src1_sel:WORD_1
	v_sub_f16_sdwa v34, v7, v5 dst_sel:DWORD dst_unused:UNUSED_PAD src0_sel:WORD_1 src1_sel:WORD_1
	v_sub_f16_e32 v26, v59, v57
	v_sub_f16_e32 v164, v57, v59
	v_sub_f16_sdwa v25, v59, v57 dst_sel:DWORD dst_unused:UNUSED_PAD src0_sel:WORD_1 src1_sel:WORD_1
	v_sub_f16_sdwa v22, v57, v59 dst_sel:DWORD dst_unused:UNUSED_PAD src0_sel:WORD_1 src1_sel:WORD_1
	v_add_f16_e32 v8, v53, v4
	v_add_f16_e32 v53, v54, v5
	v_add_f16_sdwa v7, v10, v58 dst_sel:DWORD dst_unused:UNUSED_PAD src0_sel:DWORD src1_sel:WORD_1
	v_add_f16_e32 v10, v55, v60
	v_add_f16_e32 v54, v56, v59
	v_add_f16_sdwa v55, v61, v72 dst_sel:DWORD dst_unused:UNUSED_PAD src0_sel:DWORD src1_sel:WORD_1
	v_add_f16_sdwa v56, v62, v73 dst_sel:DWORD dst_unused:UNUSED_PAD src0_sel:DWORD src1_sel:WORD_1
	;; [unrolled: 1-line block ×3, first 2 shown]
	v_add_f16_e32 v61, v3, v11
	v_sub_f16_e32 v2, v3, v11
	v_fma_f16 v11, -0.5, v178, v125
	v_fmac_f16_e32 v125, -0.5, v183
	v_sub_f16_sdwa v4, v73, v75 dst_sel:DWORD dst_unused:UNUSED_PAD src0_sel:WORD_1 src1_sel:WORD_1
	v_fmamk_f16 v62, v42, 0x3b9c, v174
	v_fmac_f16_e32 v174, 0xbb9c, v42
	v_sub_f16_e32 v186, v74, v72
	v_sub_f16_sdwa v187, v74, v72 dst_sel:DWORD dst_unused:UNUSED_PAD src0_sel:WORD_1 src1_sel:WORD_1
	v_add_f16_e32 v139, v167, v73
	v_sub_f16_e32 v3, v73, v75
	v_fmamk_f16 v72, v41, 0xbb9c, v125
	v_fmac_f16_e32 v125, 0x3b9c, v41
	v_add_f16_e32 v167, v181, v4
	v_fmac_f16_e32 v174, 0x38b4, v184
	v_add_f16_e32 v144, v179, v3
	v_add_f16_sdwa v59, v9, v59 dst_sel:DWORD dst_unused:UNUSED_PAD src0_sel:DWORD src1_sel:WORD_1
	v_fmac_f16_e32 v125, 0xb8b4, v182
	v_fma_f16 v153, -0.5, v153, v0
	v_fmac_f16_e32 v174, 0x34f2, v167
	v_fmac_f16_e32 v0, -0.5, v159
	v_fmamk_f16 v9, v44, 0xbb9c, v129
	v_fmac_f16_e32 v125, 0x34f2, v144
	v_fmac_f16_e32 v129, 0x3b9c, v44
	v_mul_f16_e32 v159, 0xb4f2, v174
	v_sub_f16_e32 v160, v60, v58
	v_sub_f16_e32 v161, v58, v60
	v_sub_f16_sdwa v162, v60, v58 dst_sel:DWORD dst_unused:UNUSED_PAD src0_sel:WORD_1 src1_sel:WORD_1
	v_sub_f16_sdwa v163, v58, v60 dst_sel:DWORD dst_unused:UNUSED_PAD src0_sel:WORD_1 src1_sel:WORD_1
	v_add_f16_sdwa v58, v6, v5 dst_sel:DWORD dst_unused:UNUSED_PAD src0_sel:DWORD src1_sel:WORD_1
	v_add_f16_e32 v138, v138, v74
	v_add_f16_sdwa v55, v55, v74 dst_sel:DWORD dst_unused:UNUSED_PAD src0_sel:DWORD src1_sel:WORD_1
	v_fmamk_f16 v74, v21, 0xbb9c, v0
	v_fmac_f16_e32 v0, 0x3b9c, v21
	v_mul_f16_e32 v3, 0xb4f2, v125
	v_fmac_f16_e32 v159, 0xbb9c, v125
	v_fma_f16 v4, -0.5, v156, v1
	v_add_f16_e32 v5, v130, v131
	v_fmac_f16_e32 v9, 0x38b4, v46
	v_fmac_f16_e32 v129, 0xb8b4, v46
	v_fma_f16 v125, -0.5, v149, v63
	v_fmac_f16_e32 v63, -0.5, v158
	v_sub_f16_e32 v188, v75, v73
	v_sub_f16_sdwa v73, v75, v73 dst_sel:DWORD dst_unused:UNUSED_PAD src0_sel:WORD_1 src1_sel:WORD_1
	v_add_f16_e32 v139, v139, v75
	v_add_f16_e32 v154, v154, v164
	v_fmac_f16_e32 v0, 0xb8b4, v20
	v_add_f16_sdwa v56, v56, v75 dst_sel:DWORD dst_unused:UNUSED_PAD src0_sel:DWORD src1_sel:WORD_1
	v_fma_f16 v75, -0.5, v175, v124
	v_fma_f16 v124, -0.5, v132, v27
	v_fmac_f16_e32 v27, -0.5, v135
	v_fmac_f16_e32 v9, 0x34f2, v5
	v_fmac_f16_e32 v129, 0x34f2, v5
	v_fmamk_f16 v5, v146, 0xbb9c, v4
	v_fmac_f16_e32 v4, 0x3b9c, v146
	v_fmamk_f16 v6, v150, 0x3b9c, v63
	v_fmac_f16_e32 v63, 0xbb9c, v150
	v_fmac_f16_e32 v3, 0x3b9c, v174
	;; [unrolled: 1-line block ×3, first 2 shown]
	v_fmamk_f16 v130, v47, 0x3b9c, v27
	v_fmac_f16_e32 v27, 0xbb9c, v47
	v_add_f16_e32 v131, v148, v161
	v_fmac_f16_e32 v4, 0xb8b4, v155
	v_add_f16_e32 v132, v152, v163
	v_fmac_f16_e32 v63, 0x38b4, v157
	v_fmac_f16_e32 v6, 0xb8b4, v157
	v_add_f16_sdwa v60, v7, v60 dst_sel:DWORD dst_unused:UNUSED_PAD src0_sel:DWORD src1_sel:WORD_1
	v_fma_f16 v7, -0.5, v145, v1
	v_add_f16_e32 v1, v0, v3
	v_sub_f16_e32 v0, v0, v3
	v_add_f16_e32 v3, v136, v137
	v_fmac_f16_e32 v130, 0xb8b4, v51
	v_fmac_f16_e32 v27, 0x38b4, v51
	;; [unrolled: 1-line block ×7, first 2 shown]
	v_mul_f16_e32 v132, 0xb4f2, v4
	v_mul_f16_e32 v135, 0xb4f2, v63
	v_fmac_f16_e32 v27, 0x34f2, v3
	v_fmac_f16_e32 v5, 0x34f2, v131
	v_mul_f16_e32 v131, 0x3b9c, v6
	v_fmamk_f16 v3, v155, 0x3b9c, v7
	v_fmac_f16_e32 v132, 0x3b9c, v63
	v_fmac_f16_e32 v135, 0xbb9c, v4
	v_mul_f16_e32 v63, 0xbb9c, v5
	v_fmac_f16_e32 v131, 0x34f2, v5
	v_add_f16_e32 v5, v147, v160
	v_fmamk_f16 v4, v157, 0xbb9c, v125
	v_fmac_f16_e32 v3, 0x38b4, v146
	v_add_f16_e32 v127, v127, v128
	v_add_f16_e32 v128, v151, v162
	v_fmac_f16_e32 v63, 0x34f2, v6
	v_fmac_f16_e32 v4, 0xb8b4, v150
	;; [unrolled: 1-line block ×3, first 2 shown]
	v_fmamk_f16 v136, v51, 0xbb9c, v124
	v_add_f16_e32 v6, v9, v131
	v_add_f16_e32 v147, v130, v63
	v_fmac_f16_e32 v4, 0x34f2, v128
	v_mul_f16_e32 v137, 0x3a79, v3
	v_mul_f16_e32 v145, 0xb8b4, v3
	v_add_f16_e32 v3, v129, v132
	v_fmac_f16_e32 v124, 0x3b9c, v51
	v_sub_f16_e32 v9, v9, v131
	v_fmac_f16_e32 v137, 0x38b4, v4
	v_fmac_f16_e32 v145, 0x3a79, v4
	v_add_f16_e32 v4, v27, v135
	v_sub_f16_e32 v51, v130, v63
	v_fma_f16 v36, -0.5, v36, v14
	v_fmac_f16_e32 v14, -0.5, v38
	v_fmac_f16_e32 v70, 0x38b4, v29
	v_pack_b32_f16 v4, v3, v4
	v_pack_b32_f16 v3, v6, v147
	v_add_f16_e32 v147, v8, v10
	v_sub_f16_e32 v10, v8, v10
	v_pack_b32_f16 v8, v9, v51
	v_fmamk_f16 v51, v29, 0x3b9c, v140
	v_fmac_f16_e32 v140, 0xbb9c, v29
	v_fmamk_f16 v29, v30, 0xbb9c, v36
	v_fmac_f16_e32 v36, 0x3b9c, v30
	v_add_f16_e32 v33, v33, v35
	v_fmamk_f16 v35, v31, 0x3b9c, v14
	v_fmac_f16_e32 v14, 0xbb9c, v31
	v_fmac_f16_e32 v29, 0xb8b4, v31
	;; [unrolled: 1-line block ×3, first 2 shown]
	v_add_f16_e32 v31, v32, v34
	v_fmac_f16_e32 v35, 0xb8b4, v30
	v_fmac_f16_e32 v14, 0x38b4, v30
	v_fmamk_f16 v30, v52, 0x3b9c, v75
	v_fmac_f16_e32 v75, 0xbb9c, v52
	v_fmamk_f16 v32, v50, 0xbb9c, v143
	v_fmac_f16_e32 v35, 0x34f2, v31
	v_fmac_f16_e32 v14, 0x34f2, v31
	v_add_f16_e32 v31, v176, v186
	v_fmac_f16_e32 v30, 0x38b4, v49
	v_fmac_f16_e32 v29, 0x34f2, v33
	;; [unrolled: 1-line block ×4, first 2 shown]
	v_add_f16_e32 v33, v177, v187
	v_fmac_f16_e32 v32, 0xb8b4, v45
	v_fmac_f16_e32 v30, 0x34f2, v31
	;; [unrolled: 1-line block ×4, first 2 shown]
	v_add_f16_e32 v133, v133, v134
	v_fmac_f16_e32 v32, 0x34f2, v33
	v_mul_f16_e32 v31, 0x3a79, v30
	v_mul_f16_e32 v30, 0xb8b4, v30
	v_fmamk_f16 v134, v46, 0x3b9c, v126
	v_fmac_f16_e32 v7, 0xbb9c, v155
	v_fmac_f16_e32 v125, 0x38b4, v150
	;; [unrolled: 1-line block ×4, first 2 shown]
	v_mul_f16_e32 v28, 0xb4f2, v28
	v_fma_f16 v19, -0.5, v19, v13
	v_fmac_f16_e32 v134, 0x38b4, v44
	v_fmac_f16_e32 v136, 0xb8b4, v47
	v_add_f16_e32 v52, v29, v30
	v_sub_f16_e32 v29, v29, v30
	v_fmamk_f16 v30, v20, 0x3b9c, v153
	v_fmac_f16_e32 v153, 0xbb9c, v20
	v_fmac_f16_e32 v7, 0xb8b4, v146
	;; [unrolled: 1-line block ×5, first 2 shown]
	v_add_f16_e32 v23, v23, v26
	v_fmac_f16_e32 v30, 0x38b4, v21
	v_fmac_f16_e32 v153, 0xb8b4, v21
	v_fmac_f16_e32 v13, -0.5, v24
	v_fmac_f16_e32 v74, 0x38b4, v20
	v_fmamk_f16 v20, v18, 0xbb9c, v19
	v_fmac_f16_e32 v19, 0x3b9c, v18
	v_fmac_f16_e32 v134, 0x34f2, v127
	;; [unrolled: 1-line block ×5, first 2 shown]
	v_mul_f16_e32 v46, 0xba79, v125
	v_fmac_f16_e32 v143, 0x38b4, v45
	v_add_f16_e32 v21, v14, v28
	v_sub_f16_e32 v26, v14, v28
	v_fmac_f16_e32 v30, 0x34f2, v23
	v_fmac_f16_e32 v153, 0x34f2, v23
	v_add_f16_e32 v14, v17, v25
	v_fmamk_f16 v23, v15, 0x3b9c, v13
	v_fmac_f16_e32 v13, 0xbb9c, v15
	v_fmac_f16_e32 v20, 0xb8b4, v15
	;; [unrolled: 1-line block ×5, first 2 shown]
	v_mul_f16_e32 v44, 0xba79, v7
	v_sub_f16_e32 v47, v134, v137
	v_fmac_f16_e32 v46, 0xb8b4, v7
	v_sub_f16_e32 v7, v136, v145
	v_fmac_f16_e32 v76, 0xb8b4, v50
	v_fmac_f16_e32 v71, 0x34f2, v142
	;; [unrolled: 1-line block ×3, first 2 shown]
	v_add_f16_e32 v15, v16, v22
	v_fmac_f16_e32 v23, 0xb8b4, v18
	v_fmac_f16_e32 v13, 0x38b4, v18
	;; [unrolled: 1-line block ×4, first 2 shown]
	v_fmamk_f16 v14, v182, 0x3b9c, v11
	v_pack_b32_f16 v7, v47, v7
	v_sub_f16_e32 v47, v57, v60
	v_fmac_f16_e32 v76, 0x34f2, v165
	v_mul_f16_e32 v33, 0xbb9c, v71
	v_mul_f16_e32 v38, 0xba79, v143
	v_fmac_f16_e32 v23, 0x34f2, v15
	v_fmac_f16_e32 v13, 0x34f2, v15
	v_add_f16_e32 v15, v43, v188
	v_fmac_f16_e32 v14, 0x38b4, v41
	v_fmamk_f16 v18, v184, 0xbb9c, v168
	v_fmac_f16_e32 v168, 0x3b9c, v184
	v_fmac_f16_e32 v72, 0x38b4, v182
	;; [unrolled: 1-line block ×4, first 2 shown]
	v_pack_b32_f16 v10, v10, v47
	v_sub_f16_e32 v47, v129, v132
	v_add_f16_e32 v39, v39, v40
	v_fmac_f16_e32 v51, 0x38b4, v37
	v_fmac_f16_e32 v140, 0xb8b4, v37
	v_sub_f16_e32 v27, v27, v135
	v_fmac_f16_e32 v33, 0x34f2, v76
	v_fmac_f16_e32 v38, 0xb8b4, v75
	v_add_f16_e32 v16, v48, v73
	v_fmac_f16_e32 v62, 0xb8b4, v184
	v_fmac_f16_e32 v18, 0xb8b4, v42
	;; [unrolled: 1-line block ×5, first 2 shown]
	v_add_f16_e32 v63, v126, v44
	v_sub_f16_e32 v37, v126, v44
	v_fmac_f16_e32 v51, 0x34f2, v39
	v_fmac_f16_e32 v140, 0x34f2, v39
	v_add_f16_e32 v39, v53, v138
	v_sub_f16_e32 v44, v53, v138
	v_add_f16_e32 v53, v35, v33
	v_sub_f16_e32 v33, v35, v33
	;; [unrolled: 2-line block ×3, first 2 shown]
	v_fmac_f16_e32 v62, 0x34f2, v167
	v_fmac_f16_e32 v18, 0x34f2, v16
	;; [unrolled: 1-line block ×3, first 2 shown]
	v_pack_b32_f16 v16, v47, v27
	v_mul_f16_e32 v27, 0xb8b4, v14
	v_mul_f16_e32 v36, 0xbb9c, v72
	v_fmac_f16_e32 v124, 0x34f2, v133
	v_add_f16_e32 v148, v134, v137
	v_add_f16_e32 v149, v136, v145
	v_fmac_f16_e32 v27, 0x3a79, v18
	v_fmac_f16_e32 v36, 0x34f2, v62
	v_add_f16_e32 v146, v57, v60
	v_add_f16_e32 v50, v58, v55
	v_sub_f16_e32 v48, v13, v159
	v_add_f16_e32 v43, v20, v27
	v_sub_f16_e32 v27, v20, v27
	;; [unrolled: 2-line block ×3, first 2 shown]
	v_add_f16_e32 v36, v13, v159
	v_mul_lo_u16 v20, v12, 10
	v_mov_b32_e32 v13, 2
	v_add_f16_e32 v125, v124, v46
	v_sub_f16_e32 v40, v124, v46
	v_pack_b32_f16 v6, v148, v149
	v_pack_b32_f16 v5, v147, v146
	v_fmac_f16_e32 v11, 0xbb9c, v182
	v_mul_f16_e32 v22, 0x3a79, v14
	v_add_co_u32 v14, null, 0xf0, v113
	v_lshlrev_b32_sdwa v135, v13, v20 dst_sel:DWORD dst_unused:UNUSED_PAD src0_sel:DWORD src1_sel:WORD_0
	v_pack_b32_f16 v20, v39, v50
	v_mov_b32_e32 v39, 0xcccd
	v_pack_b32_f16 v9, v63, v125
	v_pack_b32_f16 v17, v37, v40
	v_fmac_f16_e32 v31, 0x38b4, v32
	v_mul_f16_e32 v32, 0x3b9c, v76
	v_fmac_f16_e32 v11, 0xb8b4, v41
	ds_write2_b64 v135, v[5:6], v[3:4] offset1:1
	ds_write2_b64 v135, v[9:10], v[7:8] offset0:2 offset1:3
	ds_write_b64 v135, v[16:17] offset:32
	v_mul_u32_u24_sdwa v3, v14, v39 dst_sel:DWORD dst_unused:UNUSED_PAD src0_sel:WORD_0 src1_sel:DWORD
	v_fmac_f16_e32 v70, 0x34f2, v141
	v_mul_f16_e32 v34, 0xba79, v75
	v_fmac_f16_e32 v32, 0x34f2, v71
	v_fmac_f16_e32 v11, 0x34f2, v15
	;; [unrolled: 1-line block ×3, first 2 shown]
	v_mul_f16_e32 v18, 0xba79, v168
	v_lshrrev_b32_e32 v4, 19, v3
	v_mul_f16_e32 v24, 0x3b9c, v62
	v_fmac_f16_e32 v34, 0x38b4, v143
	v_add_f16_e32 v46, v70, v32
	v_add_co_u32 v15, null, 0x78, v113
	v_fmac_f16_e32 v18, 0xb8b4, v11
	v_mul_u32_u24_e32 v5, 10, v14
	v_mul_lo_u16 v10, v4, 10
	v_fmac_f16_e32 v74, 0x34f2, v154
	v_fmac_f16_e32 v24, 0x34f2, v72
	v_add_f16_e32 v45, v51, v31
	v_sub_f16_e32 v31, v51, v31
	v_sub_f16_e32 v32, v70, v32
	v_add_f16_e32 v49, v140, v34
	v_sub_f16_e32 v51, v58, v55
	v_add_f16_e32 v37, v54, v139
	;; [unrolled: 2-line block ×3, first 2 shown]
	v_sub_f16_e32 v55, v19, v18
	v_pack_b32_f16 v18, v46, v53
	v_mul_u32_u24_e32 v46, 10, v15
	v_lshlrev_b32_e32 v134, 2, v5
	v_sub_nc_u16 v5, v14, v10
	v_sub_f16_e32 v34, v140, v34
	v_mul_f16_e32 v25, 0xba79, v11
	v_add_f16_e32 v11, v30, v22
	v_sub_f16_e32 v22, v30, v22
	v_add_f16_e32 v30, v74, v24
	v_add_f16_e32 v41, v59, v56
	v_pack_b32_f16 v19, v61, v21
	v_pack_b32_f16 v21, v45, v52
	v_lshlrev_b32_e32 v132, 2, v46
	v_pack_b32_f16 v6, v31, v29
	v_pack_b32_f16 v7, v32, v33
	;; [unrolled: 1-line block ×5, first 2 shown]
	v_mul_lo_u16 v1, v5, 36
	v_pack_b32_f16 v3, v34, v35
	v_pack_b32_f16 v2, v2, v26
	v_fmac_f16_e32 v25, 0x38b4, v168
	v_pack_b32_f16 v11, v11, v43
	v_pack_b32_f16 v16, v30, v47
	;; [unrolled: 1-line block ×3, first 2 shown]
	ds_write2_b64 v132, v[20:21], v[18:19] offset1:1
	ds_write2_b64 v132, v[8:9], v[6:7] offset0:2 offset1:3
	ds_write_b64 v132, v[2:3] offset:32
	ds_write2_b64 v134, v[10:11], v[16:17] offset1:1
	v_and_b32_e32 v2, 0xffff, v1
	v_sub_f16_e32 v24, v74, v24
	v_add_f16_e32 v40, v153, v25
	v_sub_f16_e32 v25, v153, v25
	v_sub_f16_e32 v42, v59, v56
	v_add_co_u32 v6, s0, s2, v2
	v_pack_b32_f16 v18, v22, v27
	v_pack_b32_f16 v19, v24, v23
	;; [unrolled: 1-line block ×6, first 2 shown]
	v_add_co_ci_u32_e64 v7, null, s3, 0, s0
	ds_write2_b64 v134, v[20:21], v[18:19] offset0:2 offset1:3
	v_and_b32_e32 v16, 0xff, v15
	ds_write_b64 v134, v[0:1] offset:32
	s_waitcnt lgkmcnt(0)
	s_barrier
	buffer_gl0_inv
	s_clause 0x2
	global_load_dwordx4 v[8:11], v[6:7], off
	global_load_dwordx4 v[0:3], v[6:7], off offset:16
	global_load_dword v124, v[6:7], off offset:32
	v_and_b32_e32 v6, 0xff, v12
	v_mul_lo_u16 v17, 0xcd, v16
	v_mad_u16 v4, 0x64, v4, v5
	v_mul_lo_u16 v6, 0xcd, v6
	v_lshrrev_b16 v76, 11, v17
	v_lshrrev_b16 v128, 11, v6
	v_mul_lo_u16 v17, v76, 10
	v_mul_lo_u16 v6, v128, 10
	v_sub_nc_u16 v17, v15, v17
	v_sub_nc_u16 v6, v12, v6
	v_and_b32_e32 v73, 0xff, v17
	v_and_b32_e32 v130, 0xff, v6
	v_mad_u64_u32 v[17:18], null, v73, 36, s[2:3]
	v_mad_u64_u32 v[6:7], null, v130, 36, s[2:3]
	s_clause 0x5
	global_load_dwordx4 v[44:47], v[6:7], off
	global_load_dwordx4 v[28:31], v[6:7], off offset:16
	global_load_dword v138, v[6:7], off offset:32
	global_load_dwordx4 v[36:39], v[17:18], off
	global_load_dwordx4 v[24:27], v[17:18], off offset:16
	global_load_dword v126, v[17:18], off offset:32
	ds_read2_b32 v[136:137], v123 offset0:112 offset1:232
	ds_read2_b32 v[139:140], v122 offset0:64 offset1:184
	;; [unrolled: 1-line block ×10, first 2 shown]
	s_waitcnt lgkmcnt(9)
	v_lshrrev_b32_e32 v6, 16, v136
	s_waitcnt lgkmcnt(8)
	v_lshrrev_b32_e32 v7, 16, v139
	;; [unrolled: 2-line block ×8, first 2 shown]
	v_lshrrev_b32_e32 v129, 16, v140
	v_lshrrev_b32_e32 v131, 16, v146
	;; [unrolled: 1-line block ×4, first 2 shown]
	s_waitcnt lgkmcnt(1)
	v_lshrrev_b32_e32 v169, 16, v153
	s_waitcnt lgkmcnt(0)
	v_lshrrev_b32_e32 v173, 16, v155
	s_waitcnt vmcnt(8)
	v_mul_f16_sdwa v20, v7, v9 dst_sel:DWORD dst_unused:UNUSED_PAD src0_sel:DWORD src1_sel:WORD_1
	v_mul_f16_sdwa v42, v139, v9 dst_sel:DWORD dst_unused:UNUSED_PAD src0_sel:DWORD src1_sel:WORD_1
	;; [unrolled: 1-line block ×4, first 2 shown]
	s_waitcnt vmcnt(7)
	v_mul_f16_sdwa v51, v149, v1 dst_sel:DWORD dst_unused:UNUSED_PAD src0_sel:DWORD src1_sel:WORD_1
	v_fma_f16 v57, v139, v9, -v20
	v_fmac_f16_e32 v42, v7, v9
	v_mul_f16_sdwa v7, v23, v1 dst_sel:DWORD dst_unused:UNUSED_PAD src0_sel:DWORD src1_sel:WORD_1
	v_mul_f16_sdwa v20, v32, v3 dst_sel:DWORD dst_unused:UNUSED_PAD src0_sel:DWORD src1_sel:WORD_1
	v_fma_f16 v55, v145, v11, -v22
	v_fmac_f16_e32 v50, v19, v11
	v_mul_f16_sdwa v22, v148, v0 dst_sel:DWORD dst_unused:UNUSED_PAD src0_sel:DWORD src1_sel:WORD_1
	v_fma_f16 v60, v149, v1, -v7
	v_fma_f16 v62, v151, v3, -v20
	v_fmac_f16_e32 v51, v23, v1
	v_add_f16_e32 v72, v136, v57
	v_mul_f16_sdwa v41, v144, v10 dst_sel:DWORD dst_unused:UNUSED_PAD src0_sel:DWORD src1_sel:WORD_1
	v_add_f16_e32 v7, v55, v60
	v_add_f16_e32 v19, v57, v62
	v_fmac_f16_e32 v22, v21, v0
	v_lshrrev_b32_e32 v23, 16, v156
	v_mul_f16_sdwa v52, v151, v3 dst_sel:DWORD dst_unused:UNUSED_PAD src0_sel:DWORD src1_sel:WORD_1
	v_fma_f16 v7, -0.5, v7, v136
	v_fmac_f16_e32 v136, -0.5, v19
	v_mul_f16_sdwa v19, v21, v0 dst_sel:DWORD dst_unused:UNUSED_PAD src0_sel:DWORD src1_sel:WORD_1
	v_lshrrev_b32_e32 v21, 16, v154
	v_mul_f16_sdwa v20, v142, v8 dst_sel:DWORD dst_unused:UNUSED_PAD src0_sel:DWORD src1_sel:WORD_1
	v_fmac_f16_e32 v41, v18, v10
	v_mul_f16_sdwa v18, v18, v10 dst_sel:DWORD dst_unused:UNUSED_PAD src0_sel:DWORD src1_sel:WORD_1
	v_fma_f16 v59, v148, v0, -v19
	v_mul_f16_sdwa v33, v21, v2 dst_sel:DWORD dst_unused:UNUSED_PAD src0_sel:DWORD src1_sel:WORD_1
	s_waitcnt vmcnt(6)
	v_mul_f16_sdwa v19, v23, v124 dst_sel:DWORD dst_unused:UNUSED_PAD src0_sel:DWORD src1_sel:WORD_1
	v_fmac_f16_e32 v52, v32, v3
	v_fmac_f16_e32 v20, v17, v8
	v_mul_f16_sdwa v17, v17, v8 dst_sel:DWORD dst_unused:UNUSED_PAD src0_sel:DWORD src1_sel:WORD_1
	v_mul_f16_sdwa v34, v154, v2 dst_sel:DWORD dst_unused:UNUSED_PAD src0_sel:DWORD src1_sel:WORD_1
	;; [unrolled: 1-line block ×3, first 2 shown]
	v_fma_f16 v58, v154, v2, -v33
	v_fma_f16 v61, v144, v10, -v18
	;; [unrolled: 1-line block ×3, first 2 shown]
	v_fmac_f16_e32 v34, v21, v2
	v_fma_f16 v21, v142, v8, -v17
	v_add_f16_e32 v17, v59, v58
	v_fmac_f16_e32 v32, v23, v124
	v_add_f16_e32 v18, v61, v43
	v_sub_f16_e32 v19, v59, v61
	v_sub_f16_e32 v33, v58, v43
	v_fma_f16 v23, -0.5, v17, v21
	v_add_f16_e32 v70, v21, v61
	v_fmac_f16_e32 v21, -0.5, v18
	v_add_f16_e32 v17, v22, v34
	v_add_f16_e32 v49, v19, v33
	;; [unrolled: 1-line block ×3, first 2 shown]
	v_sub_f16_e32 v19, v22, v41
	v_sub_f16_e32 v35, v34, v32
	;; [unrolled: 1-line block ×3, first 2 shown]
	v_fma_f16 v33, -0.5, v17, v20
	v_add_f16_e32 v54, v20, v41
	v_fmac_f16_e32 v20, -0.5, v18
	v_add_f16_e32 v48, v19, v35
	v_sub_f16_e32 v53, v59, v58
	v_fmamk_f16 v35, v63, 0xbb9c, v21
	v_fmac_f16_e32 v21, 0x3b9c, v63
	v_sub_f16_e32 v71, v41, v32
	v_sub_f16_e32 v74, v50, v51
	v_fmamk_f16 v40, v53, 0x3b9c, v20
	v_fmac_f16_e32 v20, 0xbb9c, v53
	v_sub_f16_e32 v56, v61, v43
	v_fmac_f16_e32 v21, 0xb8b4, v71
	v_sub_f16_e32 v75, v55, v57
	v_sub_f16_e32 v127, v60, v62
	v_fmamk_f16 v19, v74, 0xbb9c, v136
	v_fmac_f16_e32 v136, 0x3b9c, v74
	v_sub_f16_e32 v125, v42, v52
	v_fmac_f16_e32 v20, 0x38b4, v56
	v_fmac_f16_e32 v21, 0x34f2, v49
	v_add_f16_e32 v75, v75, v127
	v_lshrrev_b32_e32 v127, 16, v137
	v_fmac_f16_e32 v136, 0xb8b4, v125
	v_fmac_f16_e32 v20, 0x34f2, v48
	v_mul_f16_e32 v17, 0xb4f2, v21
	ds_read2_b32 v[144:145], v121 offset0:80 offset1:200
	s_waitcnt vmcnt(5)
	v_mul_f16_sdwa v18, v127, v44 dst_sel:DWORD dst_unused:UNUSED_PAD src0_sel:DWORD src1_sel:WORD_1
	v_fmac_f16_e32 v136, 0x34f2, v75
	v_mul_f16_sdwa v133, v129, v46 dst_sel:DWORD dst_unused:UNUSED_PAD src0_sel:DWORD src1_sel:WORD_1
	v_fmac_f16_e32 v17, 0x3b9c, v20
	v_lshrrev_b32_e32 v139, 16, v150
	v_fma_f16 v148, v137, v44, -v18
	v_mul_f16_sdwa v149, v137, v44 dst_sel:DWORD dst_unused:UNUSED_PAD src0_sel:DWORD src1_sel:WORD_1
	v_fma_f16 v151, v140, v46, -v133
	v_add_f16_e32 v18, v136, v17
	v_sub_f16_e32 v17, v136, v17
	s_waitcnt vmcnt(4)
	v_mul_f16_sdwa v136, v131, v28 dst_sel:DWORD dst_unused:UNUSED_PAD src0_sel:DWORD src1_sel:WORD_1
	v_mul_f16_sdwa v133, v139, v30 dst_sel:DWORD dst_unused:UNUSED_PAD src0_sel:DWORD src1_sel:WORD_1
	;; [unrolled: 1-line block ×3, first 2 shown]
	v_fmac_f16_e32 v149, v127, v44
	s_waitcnt vmcnt(3)
	v_mul_f16_sdwa v127, v157, v138 dst_sel:DWORD dst_unused:UNUSED_PAD src0_sel:DWORD src1_sel:WORD_1
	v_fma_f16 v156, v146, v28, -v136
	v_mul_f16_sdwa v146, v146, v28 dst_sel:DWORD dst_unused:UNUSED_PAD src0_sel:DWORD src1_sel:WORD_1
	ds_read2_b32 v[136:137], v117 offset0:32 offset1:152
	v_fma_f16 v158, v150, v30, -v133
	v_mul_f16_sdwa v150, v150, v30 dst_sel:DWORD dst_unused:UNUSED_PAD src0_sel:DWORD src1_sel:WORD_1
	s_waitcnt lgkmcnt(1)
	v_lshrrev_b32_e32 v160, 16, v145
	v_fmac_f16_e32 v146, v131, v28
	v_lshrrev_b32_e32 v131, 16, v144
	v_lshrrev_b32_e32 v133, 16, v141
	v_fmac_f16_e32 v150, v139, v30
	s_waitcnt vmcnt(2)
	v_mul_f16_sdwa v140, v160, v37 dst_sel:DWORD dst_unused:UNUSED_PAD src0_sel:DWORD src1_sel:WORD_1
	v_fma_f16 v159, v152, v138, -v127
	v_mul_f16_sdwa v139, v131, v45 dst_sel:DWORD dst_unused:UNUSED_PAD src0_sel:DWORD src1_sel:WORD_1
	v_mul_f16_sdwa v127, v133, v36 dst_sel:DWORD dst_unused:UNUSED_PAD src0_sel:DWORD src1_sel:WORD_1
	;; [unrolled: 1-line block ×3, first 2 shown]
	v_fma_f16 v163, v145, v37, -v140
	v_fmac_f16_e32 v154, v129, v46
	v_fma_f16 v144, v144, v45, -v139
	ds_read2_b32 v[139:140], v111 offset0:112 offset1:232
	v_fma_f16 v127, v141, v36, -v127
	v_mul_f16_sdwa v129, v141, v36 dst_sel:DWORD dst_unused:UNUSED_PAD src0_sel:DWORD src1_sel:WORD_1
	v_fmac_f16_e32 v161, v131, v45
	s_waitcnt lgkmcnt(1)
	v_lshrrev_b32_e32 v141, 16, v136
	v_lshrrev_b32_e32 v164, 16, v137
	v_mul_f16_sdwa v142, v162, v38 dst_sel:DWORD dst_unused:UNUSED_PAD src0_sel:DWORD src1_sel:WORD_1
	v_mul_f16_sdwa v131, v145, v37 dst_sel:DWORD dst_unused:UNUSED_PAD src0_sel:DWORD src1_sel:WORD_1
	;; [unrolled: 1-line block ×5, first 2 shown]
	v_fma_f16 v167, v143, v38, -v142
	v_mul_f16_sdwa v152, v152, v138 dst_sel:DWORD dst_unused:UNUSED_PAD src0_sel:DWORD src1_sel:WORD_1
	v_fmac_f16_e32 v145, v141, v47
	ds_read2_b32 v[141:142], v107 offset0:64 offset1:184
	v_fma_f16 v165, v136, v47, -v165
	v_fma_f16 v166, v137, v39, -v166
	v_mul_f16_sdwa v136, v137, v39 dst_sel:DWORD dst_unused:UNUSED_PAD src0_sel:DWORD src1_sel:WORD_1
	v_lshrrev_b32_e32 v137, 16, v147
	v_mul_f16_sdwa v143, v143, v38 dst_sel:DWORD dst_unused:UNUSED_PAD src0_sel:DWORD src1_sel:WORD_1
	v_fmac_f16_e32 v152, v157, v138
	v_fmac_f16_e32 v129, v133, v36
	s_waitcnt lgkmcnt(1)
	v_lshrrev_b32_e32 v157, 16, v139
	s_waitcnt vmcnt(1)
	v_mul_f16_sdwa v133, v137, v24 dst_sel:DWORD dst_unused:UNUSED_PAD src0_sel:DWORD src1_sel:WORD_1
	v_fmac_f16_e32 v131, v160, v37
	v_fmac_f16_e32 v143, v162, v38
	v_lshrrev_b32_e32 v160, 16, v140
	v_fmac_f16_e32 v136, v164, v39
	v_fma_f16 v162, v147, v24, -v133
	v_mul_f16_sdwa v164, v139, v29 dst_sel:DWORD dst_unused:UNUSED_PAD src0_sel:DWORD src1_sel:WORD_1
	v_mul_f16_sdwa v133, v157, v29 dst_sel:DWORD dst_unused:UNUSED_PAD src0_sel:DWORD src1_sel:WORD_1
	;; [unrolled: 1-line block ×4, first 2 shown]
	v_add_f16_e32 v193, v156, v158
	v_fmac_f16_e32 v164, v157, v29
	v_fma_f16 v157, v139, v29, -v133
	v_mul_f16_sdwa v133, v169, v26 dst_sel:DWORD dst_unused:UNUSED_PAD src0_sel:DWORD src1_sel:WORD_1
	s_waitcnt lgkmcnt(0)
	v_lshrrev_b32_e32 v171, 16, v142
	v_lshrrev_b32_e32 v172, 16, v141
	v_fma_f16 v168, v140, v25, -v168
	ds_read2_b32 v[139:140], v118 offset1:120
	v_fma_f16 v174, v153, v26, -v133
	v_mul_f16_sdwa v175, v141, v31 dst_sel:DWORD dst_unused:UNUSED_PAD src0_sel:DWORD src1_sel:WORD_1
	v_mul_f16_sdwa v133, v171, v27 dst_sel:DWORD dst_unused:UNUSED_PAD src0_sel:DWORD src1_sel:WORD_1
	v_mul_f16_sdwa v176, v172, v31 dst_sel:DWORD dst_unused:UNUSED_PAD src0_sel:DWORD src1_sel:WORD_1
	v_mul_f16_sdwa v153, v153, v26 dst_sel:DWORD dst_unused:UNUSED_PAD src0_sel:DWORD src1_sel:WORD_1
	v_sub_f16_e32 v196, v151, v159
	v_fmac_f16_e32 v175, v172, v31
	v_fma_f16 v172, v142, v27, -v133
	v_mul_f16_sdwa v142, v142, v27 dst_sel:DWORD dst_unused:UNUSED_PAD src0_sel:DWORD src1_sel:WORD_1
	v_fma_f16 v141, v141, v31, -v176
	v_add_f16_e32 v176, v146, v150
	v_fmac_f16_e32 v153, v169, v26
	v_sub_f16_e32 v169, v166, v163
	v_fmac_f16_e32 v142, v171, v27
	v_sub_f16_e32 v171, v168, v172
	v_fma_f16 v176, -0.5, v176, v149
	v_sub_f16_e32 v194, v151, v156
	v_sub_f16_e32 v195, v159, v158
	v_fma_f16 v193, -0.5, v193, v148
	v_add_f16_e32 v169, v169, v171
	v_add_f16_e32 v171, v165, v157
	v_sub_f16_e32 v197, v154, v152
	v_sub_f16_e32 v198, v154, v146
	;; [unrolled: 1-line block ×3, first 2 shown]
	v_fmamk_f16 v200, v196, 0xbb9c, v176
	v_sub_f16_e32 v201, v156, v158
	v_add_f16_e32 v204, v144, v141
	s_waitcnt lgkmcnt(0)
	v_fma_f16 v171, -0.5, v171, v139
	v_fmamk_f16 v202, v197, 0x3b9c, v193
	v_sub_f16_e32 v203, v146, v150
	v_add_f16_e32 v194, v194, v195
	v_add_f16_e32 v195, v198, v199
	v_fmac_f16_e32 v200, 0xb8b4, v201
	v_fma_f16 v198, -0.5, v204, v139
	v_lshrrev_b32_e32 v199, 16, v139
	v_add_f16_e32 v139, v139, v144
	v_fmac_f16_e32 v202, 0x38b4, v203
	v_fmac_f16_e32 v200, 0x34f2, v195
	v_sub_f16_e32 v214, v145, v164
	v_sub_f16_e32 v204, v144, v165
	v_add_f16_e32 v139, v139, v165
	v_fmac_f16_e32 v202, 0x34f2, v194
	v_mul_f16_e32 v208, 0x38b4, v200
	v_sub_f16_e32 v205, v141, v157
	v_sub_f16_e32 v206, v161, v145
	v_add_f16_e32 v139, v139, v157
	v_sub_f16_e32 v207, v175, v164
	v_mul_f16_e32 v209, 0xb8b4, v202
	v_fmac_f16_e32 v208, 0x3a79, v202
	v_add_f16_e32 v202, v199, v161
	v_sub_f16_e32 v212, v144, v141
	v_add_f16_e32 v139, v139, v141
	v_sub_f16_e32 v144, v165, v144
	v_sub_f16_e32 v141, v157, v141
	;; [unrolled: 1-line block ×4, first 2 shown]
	v_fmamk_f16 v157, v214, 0xbb9c, v198
	v_fmac_f16_e32 v198, 0x3b9c, v214
	v_add_f16_e32 v204, v204, v205
	v_add_f16_e32 v205, v206, v207
	;; [unrolled: 1-line block ×7, first 2 shown]
	v_sub_f16_e32 v145, v145, v161
	v_sub_f16_e32 v161, v164, v175
	s_waitcnt vmcnt(0)
	v_mul_f16_sdwa v177, v173, v126 dst_sel:DWORD dst_unused:UNUSED_PAD src0_sel:DWORD src1_sel:WORD_1
	v_fmac_f16_e32 v157, 0x38b4, v211
	v_fmac_f16_e32 v198, 0xb8b4, v211
	v_add_f16_e32 v207, v207, v146
	v_fma_f16 v210, -0.5, v210, v199
	v_fmac_f16_e32 v199, -0.5, v144
	v_add_f16_e32 v144, v145, v161
	v_add_f16_e32 v145, v151, v159
	v_mul_f16_sdwa v147, v147, v24 dst_sel:DWORD dst_unused:UNUSED_PAD src0_sel:DWORD src1_sel:WORD_1
	v_fma_f16 v177, v155, v126, -v177
	v_mul_f16_sdwa v155, v155, v126 dst_sel:DWORD dst_unused:UNUSED_PAD src0_sel:DWORD src1_sel:WORD_1
	v_add_f16_e32 v133, v166, v168
	v_fmac_f16_e32 v170, v160, v25
	v_add_f16_e32 v160, v163, v172
	v_fmac_f16_e32 v157, 0x34f2, v141
	v_fmac_f16_e32 v198, 0x34f2, v141
	v_add_f16_e32 v141, v154, v152
	v_add_f16_e32 v206, v148, v151
	;; [unrolled: 1-line block ×3, first 2 shown]
	v_fmac_f16_e32 v148, -0.5, v145
	v_fmac_f16_e32 v147, v137, v24
	v_fmac_f16_e32 v155, v173, v126
	v_fma_f16 v133, -0.5, v133, v140
	v_lshrrev_b32_e32 v137, 16, v140
	v_add_f16_e32 v173, v140, v163
	v_add_f16_e32 v178, v162, v174
	v_fmac_f16_e32 v140, -0.5, v160
	v_add_f16_e32 v160, v167, v177
	v_sub_f16_e32 v179, v162, v167
	v_sub_f16_e32 v180, v174, v177
	v_fmac_f16_e32 v149, -0.5, v141
	v_add_f16_e32 v206, v206, v156
	v_add_f16_e32 v207, v207, v152
	v_sub_f16_e32 v151, v156, v151
	v_sub_f16_e32 v156, v158, v159
	;; [unrolled: 1-line block ×4, first 2 shown]
	v_fmamk_f16 v152, v203, 0xbb9c, v148
	v_fmac_f16_e32 v148, 0x3b9c, v203
	v_fma_f16 v178, -0.5, v178, v127
	v_add_f16_e32 v181, v127, v167
	v_fmac_f16_e32 v127, -0.5, v160
	v_add_f16_e32 v160, v147, v153
	v_add_f16_e32 v179, v179, v180
	v_add_f16_e32 v180, v143, v155
	v_sub_f16_e32 v182, v147, v143
	v_sub_f16_e32 v183, v153, v155
	;; [unrolled: 1-line block ×3, first 2 shown]
	v_fmamk_f16 v150, v201, 0x3b9c, v149
	v_fmac_f16_e32 v149, 0xbb9c, v201
	v_fmamk_f16 v141, v216, 0x3b9c, v199
	v_fmac_f16_e32 v199, 0xbb9c, v216
	v_add_f16_e32 v145, v145, v146
	v_add_f16_e32 v146, v151, v156
	v_fmac_f16_e32 v152, 0x38b4, v197
	v_fmac_f16_e32 v148, 0xb8b4, v197
	;; [unrolled: 1-line block ×4, first 2 shown]
	v_fma_f16 v160, -0.5, v160, v129
	v_add_f16_e32 v185, v129, v143
	v_fmac_f16_e32 v129, -0.5, v180
	v_add_f16_e32 v180, v182, v183
	v_sub_f16_e32 v182, v162, v174
	v_fmamk_f16 v183, v184, 0xbb9c, v127
	v_fmac_f16_e32 v127, 0x3b9c, v184
	v_sub_f16_e32 v186, v143, v155
	v_fmac_f16_e32 v150, 0xb8b4, v196
	v_fmac_f16_e32 v149, 0x38b4, v196
	;; [unrolled: 1-line block ×8, first 2 shown]
	v_sub_f16_e32 v187, v136, v170
	v_fmamk_f16 v188, v182, 0x3b9c, v129
	v_fmac_f16_e32 v129, 0xbb9c, v182
	v_sub_f16_e32 v189, v167, v177
	v_fmac_f16_e32 v127, 0xb8b4, v186
	v_fmamk_f16 v213, v211, 0x3b9c, v171
	v_fmamk_f16 v215, v212, 0xbb9c, v210
	v_fmac_f16_e32 v150, 0x34f2, v145
	v_fmac_f16_e32 v149, 0x34f2, v145
	;; [unrolled: 1-line block ×4, first 2 shown]
	v_mul_f16_e32 v144, 0xbb9c, v152
	v_mul_f16_e32 v145, 0xb4f2, v148
	v_fmac_f16_e32 v171, 0xbb9c, v211
	v_fmac_f16_e32 v210, 0x3b9c, v212
	;; [unrolled: 1-line block ×4, first 2 shown]
	v_fmamk_f16 v190, v187, 0xbb9c, v140
	v_fmac_f16_e32 v140, 0x3b9c, v187
	v_sub_f16_e32 v191, v131, v142
	v_fmac_f16_e32 v129, 0x38b4, v189
	v_fmac_f16_e32 v127, 0x34f2, v179
	v_add_f16_e32 v202, v202, v164
	v_add_f16_e32 v206, v206, v158
	v_fmac_f16_e32 v213, 0x38b4, v214
	v_fmac_f16_e32 v215, 0xb8b4, v216
	v_mul_f16_e32 v151, 0x3b9c, v150
	v_mul_f16_e32 v146, 0xb4f2, v149
	v_fmac_f16_e32 v144, 0x34f2, v150
	v_fmac_f16_e32 v145, 0x3b9c, v149
	;; [unrolled: 1-line block ×4, first 2 shown]
	v_mul_f16_e32 v149, 0xba79, v193
	v_mul_f16_e32 v150, 0xba79, v176
	v_fmac_f16_e32 v140, 0xb8b4, v191
	v_fmac_f16_e32 v129, 0x34f2, v180
	v_mul_f16_e32 v192, 0xb4f2, v127
	v_fmac_f16_e32 v209, 0x3a79, v200
	v_mov_b32_e32 v200, 0x64
	v_add_f16_e32 v202, v202, v175
	v_add_f16_e32 v206, v206, v159
	v_fmac_f16_e32 v213, 0x34f2, v204
	v_fmac_f16_e32 v215, 0x34f2, v205
	;; [unrolled: 1-line block ×10, first 2 shown]
	v_mul_u32_u24_sdwa v128, v128, v200 dst_sel:DWORD dst_unused:UNUSED_PAD src0_sel:WORD_0 src1_sel:DWORD
	v_add_f16_e32 v217, v139, v206
	v_add_f16_e32 v218, v202, v207
	;; [unrolled: 1-line block ×8, first 2 shown]
	v_sub_f16_e32 v139, v139, v206
	v_add_f16_e32 v158, v171, v149
	v_add_f16_e32 v159, v210, v150
	v_sub_f16_e32 v161, v202, v207
	v_add_f16_e32 v221, v140, v192
	v_sub_f16_e32 v140, v140, v192
	v_add_lshl_u32 v130, v128, v130, 2
	v_pack_b32_f16 v128, v217, v218
	v_pack_b32_f16 v192, v219, v220
	v_pack_b32_f16 v148, v148, v152
	v_pack_b32_f16 v152, v154, v156
	v_sub_f16_e32 v156, v213, v208
	v_sub_f16_e32 v151, v157, v151
	;; [unrolled: 1-line block ×4, first 2 shown]
	v_pack_b32_f16 v154, v158, v159
	v_pack_b32_f16 v139, v139, v161
	s_barrier
	buffer_gl0_inv
	ds_write2_b32 v130, v128, v192 offset1:10
	ds_write2_b32 v130, v148, v152 offset0:20 offset1:30
	ds_write2_b32 v130, v154, v139 offset0:40 offset1:50
	v_pack_b32_f16 v128, v156, v157
	v_pack_b32_f16 v139, v151, v141
	v_sub_f16_e32 v141, v198, v145
	v_sub_f16_e32 v144, v171, v149
	;; [unrolled: 1-line block ×4, first 2 shown]
	ds_write2_b32 v130, v128, v139 offset0:60 offset1:70
	v_sub_f16_e32 v149, v163, v166
	v_sub_f16_e32 v150, v172, v168
	v_pack_b32_f16 v128, v141, v145
	v_pack_b32_f16 v141, v144, v146
	v_sub_f16_e32 v145, v131, v136
	v_sub_f16_e32 v146, v142, v170
	;; [unrolled: 1-line block ×3, first 2 shown]
	v_add_f16_e32 v161, v131, v142
	v_sub_f16_e32 v151, v167, v162
	v_sub_f16_e32 v152, v177, v174
	v_add_f16_e32 v145, v145, v146
	v_add_f16_e32 v146, v185, v147
	v_sub_f16_e32 v147, v155, v153
	v_add_f16_e32 v148, v173, v166
	v_add_f16_e32 v144, v149, v150
	;; [unrolled: 3-line block ×3, first 2 shown]
	v_add_f16_e32 v154, v137, v131
	v_add_f16_e32 v151, v151, v152
	v_fmamk_f16 v152, v189, 0xbb9c, v160
	v_add_f16_e32 v143, v143, v147
	v_fma_f16 v153, -0.5, v153, v137
	v_fmac_f16_e32 v137, -0.5, v161
	v_fmamk_f16 v147, v186, 0x3b9c, v178
	v_add_f16_e32 v139, v148, v168
	v_sub_f16_e32 v148, v163, v172
	v_add_f16_e32 v154, v154, v136
	ds_write2_b32 v130, v128, v141 offset0:80 offset1:90
	v_sub_f16_e32 v131, v136, v131
	v_sub_f16_e32 v136, v170, v142
	v_fmamk_f16 v141, v150, 0x3b9c, v137
	v_fmac_f16_e32 v137, 0xbb9c, v150
	v_fmac_f16_e32 v188, 0xb8b4, v189
	;; [unrolled: 1-line block ×5, first 2 shown]
	v_add_f16_e32 v131, v131, v136
	v_fmac_f16_e32 v141, 0xb8b4, v148
	v_fmac_f16_e32 v137, 0x38b4, v148
	;; [unrolled: 1-line block ×4, first 2 shown]
	v_add_f16_e32 v149, v181, v162
	v_add_f16_e32 v146, v146, v155
	v_fmac_f16_e32 v152, 0x34f2, v143
	v_fmamk_f16 v155, v191, 0x3b9c, v133
	v_fmac_f16_e32 v147, 0x34f2, v151
	v_fmamk_f16 v156, v148, 0xbb9c, v153
	v_fmac_f16_e32 v178, 0xbb9c, v186
	v_fmac_f16_e32 v160, 0x3b9c, v189
	;; [unrolled: 1-line block ×5, first 2 shown]
	v_mul_f16_e32 v131, 0x3b9c, v188
	v_mul_f16_e32 v136, 0xbb9c, v183
	v_add_f16_e32 v149, v149, v174
	v_mul_f16_e32 v157, 0x38b4, v152
	v_add_f16_e32 v154, v154, v170
	v_fmac_f16_e32 v155, 0x38b4, v187
	v_mul_f16_e32 v158, 0xb8b4, v147
	v_fmac_f16_e32 v156, 0xb8b4, v150
	v_fmac_f16_e32 v178, 0xb8b4, v184
	;; [unrolled: 1-line block ×4, first 2 shown]
	v_mul_f16_e32 v129, 0xb4f2, v129
	v_fmac_f16_e32 v131, 0x34f2, v183
	v_fmac_f16_e32 v136, 0x34f2, v188
	v_add_f16_e32 v139, v139, v172
	v_add_f16_e32 v149, v149, v177
	v_fmac_f16_e32 v157, 0x3a79, v147
	v_add_f16_e32 v147, v154, v142
	v_fmac_f16_e32 v155, 0x34f2, v144
	v_fmac_f16_e32 v158, 0x3a79, v152
	;; [unrolled: 1-line block ×8, first 2 shown]
	v_add_f16_e32 v127, v190, v131
	v_add_f16_e32 v142, v141, v136
	v_mul_u32_u24_sdwa v76, v76, v200 dst_sel:DWORD dst_unused:UNUSED_PAD src0_sel:WORD_0 src1_sel:DWORD
	v_add_f16_e32 v152, v139, v149
	v_add_f16_e32 v154, v147, v146
	;; [unrolled: 1-line block ×4, first 2 shown]
	v_fmac_f16_e32 v133, 0xb8b4, v187
	v_fmac_f16_e32 v153, 0x38b4, v150
	v_mul_f16_e32 v143, 0xba79, v178
	v_mul_f16_e32 v148, 0xba79, v160
	v_pack_b32_f16 v127, v127, v142
	v_add_f16_e32 v142, v137, v129
	v_add_lshl_u32 v128, v76, v73, 2
	v_pack_b32_f16 v73, v152, v154
	v_pack_b32_f16 v76, v159, v162
	v_fmac_f16_e32 v133, 0x34f2, v144
	v_fmac_f16_e32 v153, 0x34f2, v145
	;; [unrolled: 1-line block ×4, first 2 shown]
	v_sub_f16_e32 v136, v141, v136
	v_pack_b32_f16 v141, v221, v142
	v_sub_f16_e32 v139, v139, v149
	v_sub_f16_e32 v144, v147, v146
	v_add_f16_e32 v145, v133, v143
	v_add_f16_e32 v146, v153, v148
	ds_write2_b32 v128, v73, v76 offset1:10
	ds_write2_b32 v128, v127, v141 offset0:20 offset1:30
	v_sub_f16_e32 v73, v137, v129
	v_sub_f16_e32 v76, v133, v143
	;; [unrolled: 1-line block ×6, first 2 shown]
	v_pack_b32_f16 v142, v145, v146
	v_pack_b32_f16 v139, v139, v144
	v_pack_b32_f16 v73, v140, v73
	v_fmamk_f16 v133, v125, 0x3b9c, v7
	v_fmac_f16_e32 v7, 0xbb9c, v125
	v_pack_b32_f16 v76, v76, v127
	v_add_f16_e32 v72, v72, v55
	v_pack_b32_f16 v144, v147, v149
	v_pack_b32_f16 v131, v131, v136
	ds_write2_b32 v128, v142, v139 offset0:40 offset1:50
	ds_write2_b32 v128, v144, v131 offset0:60 offset1:70
	v_fmac_f16_e32 v133, 0x38b4, v74
	v_fmac_f16_e32 v7, 0xb8b4, v74
	;; [unrolled: 1-line block ×3, first 2 shown]
	v_add_f16_e32 v72, v72, v60
	ds_write2_b32 v128, v73, v76 offset0:80 offset1:90
	v_add_f16_e32 v73, v6, v42
	v_add_f16_e32 v74, v50, v51
	v_sub_f16_e32 v129, v57, v55
	v_sub_f16_e32 v131, v62, v60
	v_fmac_f16_e32 v19, 0x34f2, v75
	v_add_f16_e32 v72, v72, v62
	v_sub_f16_e32 v57, v57, v62
	v_sub_f16_e32 v62, v42, v50
	;; [unrolled: 1-line block ×3, first 2 shown]
	v_add_f16_e32 v73, v73, v50
	v_fma_f16 v74, -0.5, v74, v6
	v_sub_f16_e32 v55, v55, v60
	v_add_f16_e32 v60, v42, v52
	v_add_f16_e32 v62, v62, v75
	;; [unrolled: 1-line block ×3, first 2 shown]
	v_fmamk_f16 v75, v57, 0xbb9c, v74
	v_fmac_f16_e32 v74, 0x3b9c, v57
	v_fmac_f16_e32 v6, -0.5, v60
	v_sub_f16_e32 v42, v50, v42
	v_sub_f16_e32 v51, v51, v52
	v_add_f16_e32 v50, v73, v52
	v_fmac_f16_e32 v75, 0xb8b4, v55
	v_fmac_f16_e32 v74, 0x38b4, v55
	v_fmamk_f16 v52, v55, 0x3b9c, v6
	v_fmac_f16_e32 v6, 0xbb9c, v55
	v_add_f16_e32 v42, v42, v51
	v_add_f16_e32 v51, v70, v59
	v_sub_f16_e32 v55, v61, v59
	v_sub_f16_e32 v59, v43, v58
	v_fmamk_f16 v60, v71, 0x3b9c, v23
	v_fmac_f16_e32 v23, 0xbb9c, v71
	v_sub_f16_e32 v41, v41, v22
	v_add_f16_e32 v22, v54, v22
	v_fmac_f16_e32 v40, 0xb8b4, v56
	v_fmac_f16_e32 v52, 0xb8b4, v57
	;; [unrolled: 1-line block ×3, first 2 shown]
	v_add_f16_e32 v51, v51, v58
	v_add_f16_e32 v55, v55, v59
	v_fmac_f16_e32 v23, 0xb8b4, v63
	v_fmac_f16_e32 v35, 0x38b4, v71
	v_sub_f16_e32 v57, v32, v34
	v_fmamk_f16 v58, v56, 0xbb9c, v33
	v_fmac_f16_e32 v33, 0x3b9c, v56
	v_add_f16_e32 v22, v22, v34
	v_fmac_f16_e32 v40, 0x34f2, v48
	v_add_f16_e32 v41, v41, v57
	v_fmac_f16_e32 v58, 0xb8b4, v53
	v_fmac_f16_e32 v23, 0x34f2, v55
	;; [unrolled: 1-line block ×4, first 2 shown]
	v_add_f16_e32 v22, v22, v32
	v_mul_f16_e32 v32, 0x3b9c, v40
	v_add_f16_e32 v127, v129, v131
	v_fmac_f16_e32 v58, 0x34f2, v41
	v_fmac_f16_e32 v33, 0x34f2, v41
	v_mul_f16_e32 v41, 0xbb9c, v35
	v_mul_f16_e32 v48, 0xba79, v23
	v_fmac_f16_e32 v32, 0x34f2, v35
	v_add_nc_u16 v35, v12, 0x1e0
	v_fmac_f16_e32 v7, 0x34f2, v127
	v_fmac_f16_e32 v60, 0x38b4, v63
	;; [unrolled: 1-line block ×4, first 2 shown]
	v_add_f16_e32 v42, v51, v43
	v_mul_f16_e32 v20, 0xb4f2, v20
	v_mul_f16_e32 v49, 0xba79, v33
	v_fmac_f16_e32 v41, 0x34f2, v40
	v_fmac_f16_e32 v48, 0x38b4, v33
	v_add_f16_e32 v40, v19, v32
	v_sub_f16_e32 v19, v19, v32
	v_mov_b32_e32 v32, 0x147b
	v_lshrrev_b16 v51, 2, v35
	v_fmac_f16_e32 v60, 0x34f2, v55
	v_fmac_f16_e32 v20, 0xbb9c, v21
	;; [unrolled: 1-line block ×3, first 2 shown]
	v_add_f16_e32 v21, v72, v42
	v_sub_f16_e32 v23, v72, v42
	v_add_f16_e32 v42, v7, v48
	v_sub_f16_e32 v7, v7, v48
	v_mul_u32_u24_sdwa v48, v51, v32 dst_sel:DWORD dst_unused:UNUSED_PAD src0_sel:WORD_0 src1_sel:DWORD
	v_mul_f16_e32 v34, 0x38b4, v58
	v_mul_f16_e32 v43, 0xb8b4, v60
	v_fmac_f16_e32 v133, 0x34f2, v127
	v_fmac_f16_e32 v75, 0x34f2, v62
	v_lshrrev_b32_e32 v48, 17, v48
	v_fmac_f16_e32 v74, 0x34f2, v62
	v_fmac_f16_e32 v34, 0x3a79, v60
	;; [unrolled: 1-line block ×3, first 2 shown]
	v_add_f16_e32 v53, v50, v22
	v_mul_lo_u16 v5, 0x64, v48
	v_sub_f16_e32 v22, v50, v22
	v_add_f16_e32 v33, v133, v34
	v_add_f16_e32 v50, v75, v43
	;; [unrolled: 1-line block ×3, first 2 shown]
	v_sub_f16_e32 v41, v52, v41
	v_add_f16_e32 v52, v6, v20
	v_sub_f16_e32 v6, v6, v20
	v_add_f16_e32 v20, v74, v49
	v_sub_f16_e32 v54, v74, v49
	v_sub_nc_u16 v49, v35, v5
	v_pack_b32_f16 v21, v21, v53
	v_pack_b32_f16 v33, v33, v50
	v_lshlrev_b32_sdwa v136, v13, v4 dst_sel:DWORD dst_unused:UNUSED_PAD src0_sel:DWORD src1_sel:WORD_0
	v_pack_b32_f16 v4, v23, v22
	v_mul_lo_u16 v22, v49, 20
	v_pack_b32_f16 v40, v40, v51
	v_pack_b32_f16 v18, v18, v52
	;; [unrolled: 1-line block ×3, first 2 shown]
	ds_write2_b32 v136, v21, v33 offset1:10
	ds_write2_b32 v136, v40, v18 offset0:20 offset1:30
	ds_write2_b32 v136, v5, v4 offset0:40 offset1:50
	v_and_b32_e32 v4, 0xffff, v22
	v_sub_f16_e32 v34, v133, v34
	v_sub_f16_e32 v43, v75, v43
	v_pack_b32_f16 v5, v17, v6
	v_pack_b32_f16 v19, v19, v41
	v_add_co_u32 v17, s0, s2, v4
	v_pack_b32_f16 v20, v34, v43
	v_pack_b32_f16 v6, v7, v54
	v_add_co_ci_u32_e64 v18, null, s3, 0, s0
	v_mad_u16 v48, 0x258, v48, v49
	ds_write2_b32 v136, v20, v19 offset0:60 offset1:70
	ds_write2_b32 v136, v5, v6 offset0:80 offset1:90
	s_waitcnt lgkmcnt(0)
	s_barrier
	buffer_gl0_inv
	s_clause 0x1
	global_load_dwordx4 v[4:7], v[17:18], off offset:360
	global_load_dword v125, v[17:18], off offset:376
	v_add_nc_u32_e32 v17, 0xffffff9c, v113
	v_mul_lo_u16 v19, v16, 41
	v_cndmask_b32_e32 v50, v17, v113, vcc_lo
	v_lshrrev_b16 v55, 12, v19
	v_mul_i32_i24_e32 v17, 20, v50
	v_mul_hi_i32_i24_e32 v18, 20, v50
	v_add_co_u32 v16, vcc_lo, s2, v17
	v_add_co_ci_u32_e32 v17, vcc_lo, s3, v18, vcc_lo
	v_mul_lo_u16 v18, 0x64, v55
	v_cmp_lt_u16_e32 vcc_lo, 0x63, v12
	s_clause 0x1
	global_load_dwordx4 v[20:23], v[16:17], off offset:360
	global_load_dword v137, v[16:17], off offset:376
	v_sub_nc_u16 v15, v15, v18
	v_and_b32_e32 v57, 0xff, v15
	v_lshrrev_b16 v15, 2, v14
	v_mad_u64_u32 v[33:34], null, v57, 20, s[2:3]
	s_clause 0x1
	global_load_dwordx4 v[16:19], v[33:34], off offset:360
	global_load_dword v127, v[33:34], off offset:376
	v_mul_u32_u24_sdwa v15, v15, v32 dst_sel:DWORD dst_unused:UNUSED_PAD src0_sel:WORD_0 src1_sel:DWORD
	v_add_nc_u16 v33, v12, 0x168
	v_cndmask_b32_e64 v12, 0, 0x258, vcc_lo
	v_lshrrev_b32_e32 v51, 17, v15
	v_lshrrev_b16 v15, 2, v33
	v_mul_lo_u16 v34, 0x64, v51
	v_mul_u32_u24_sdwa v15, v15, v32 dst_sel:DWORD dst_unused:UNUSED_PAD src0_sel:WORD_0 src1_sel:DWORD
	v_sub_nc_u16 v54, v14, v34
	v_lshrrev_b32_e32 v14, 17, v15
	v_mul_lo_u16 v15, v54, 20
	v_mul_lo_u16 v32, 0x64, v14
	v_mad_u16 v51, 0x258, v51, v54
	v_and_b32_e32 v15, 0xffff, v15
	v_sub_nc_u16 v53, v33, v32
	v_add_co_u32 v32, s0, s2, v15
	v_add_co_ci_u32_e64 v33, null, s3, 0, s0
	v_mul_lo_u16 v15, v53, 20
	v_mad_u16 v14, 0x258, v14, v53
	s_clause 0x1
	global_load_dwordx4 v[40:43], v[32:33], off offset:360
	global_load_dword v131, v[32:33], off offset:376
	v_and_b32_e32 v15, 0xffff, v15
	v_add_co_u32 v58, s0, s2, v15
	v_add_co_ci_u32_e64 v59, null, s3, 0, s0
	s_clause 0x1
	global_load_dwordx4 v[32:35], v[58:59], off offset:360
	global_load_dword v129, v[58:59], off offset:376
	ds_read2_b32 v[75:76], v116 offset0:16 offset1:136
	ds_read2_b32 v[139:140], v107 offset0:64 offset1:184
	;; [unrolled: 1-line block ×7, first 2 shown]
	s_waitcnt lgkmcnt(6)
	v_lshrrev_b32_e32 v15, 16, v75
	s_waitcnt lgkmcnt(5)
	v_lshrrev_b32_e32 v52, 16, v139
	v_lshrrev_b32_e32 v141, 16, v76
	s_waitcnt lgkmcnt(3)
	v_lshrrev_b32_e32 v58, 16, v146
	;; [unrolled: 3-line block ×3, first 2 shown]
	v_lshrrev_b32_e32 v164, 16, v151
	s_waitcnt vmcnt(9)
	v_mul_f16_sdwa v61, v75, v5 dst_sel:DWORD dst_unused:UNUSED_PAD src0_sel:DWORD src1_sel:WORD_1
	v_mul_f16_sdwa v56, v15, v5 dst_sel:DWORD dst_unused:UNUSED_PAD src0_sel:DWORD src1_sel:WORD_1
	;; [unrolled: 1-line block ×3, first 2 shown]
	s_waitcnt vmcnt(8)
	v_mul_f16_sdwa v59, v58, v125 dst_sel:DWORD dst_unused:UNUSED_PAD src0_sel:DWORD src1_sel:WORD_1
	v_mul_f16_sdwa v73, v143, v6 dst_sel:DWORD dst_unused:UNUSED_PAD src0_sel:DWORD src1_sel:WORD_1
	v_fmac_f16_e32 v61, v15, v5
	v_mul_f16_sdwa v15, v52, v7 dst_sel:DWORD dst_unused:UNUSED_PAD src0_sel:DWORD src1_sel:WORD_1
	v_fma_f16 v60, v75, v5, -v56
	v_lshrrev_b32_e32 v56, 16, v143
	v_fmac_f16_e32 v62, v52, v7
	v_fma_f16 v71, v146, v125, -v59
	v_fma_f16 v63, v139, v7, -v15
	v_lshrrev_b32_e32 v15, 16, v148
	v_mul_f16_sdwa v52, v56, v6 dst_sel:DWORD dst_unused:UNUSED_PAD src0_sel:DWORD src1_sel:WORD_1
	v_mul_f16_sdwa v70, v146, v125 dst_sel:DWORD dst_unused:UNUSED_PAD src0_sel:DWORD src1_sel:WORD_1
	v_fmac_f16_e32 v73, v56, v6
	v_mul_f16_sdwa v59, v148, v4 dst_sel:DWORD dst_unused:UNUSED_PAD src0_sel:DWORD src1_sel:WORD_1
	v_mul_f16_sdwa v74, v15, v4 dst_sel:DWORD dst_unused:UNUSED_PAD src0_sel:DWORD src1_sel:WORD_1
	v_fma_f16 v133, v143, v6, -v52
	v_fmac_f16_e32 v70, v58, v125
	v_add_f16_e32 v72, v60, v63
	v_fmac_f16_e32 v59, v15, v4
	v_fma_f16 v56, v148, v4, -v74
	v_add_f16_e32 v75, v133, v71
	v_sub_f16_e32 v58, v73, v70
	v_add_f16_e32 v15, v73, v70
	v_add_f16_e32 v160, v59, v73
	;; [unrolled: 1-line block ×3, first 2 shown]
	v_fmac_f16_e32 v56, -0.5, v75
	ds_read2_b32 v[143:144], v99 offset0:48 offset1:168
	v_fmac_f16_e32 v59, -0.5, v15
	v_sub_f16_e32 v15, v133, v71
	v_lshrrev_b32_e32 v52, 16, v149
	v_fmamk_f16 v75, v58, 0x3aee, v56
	v_fmac_f16_e32 v56, 0xbaee, v58
	v_add_f16_e32 v159, v149, v60
	v_fmac_f16_e32 v149, -0.5, v72
	v_sub_f16_e32 v72, v61, v62
	v_fmamk_f16 v73, v15, 0xbaee, v59
	v_fmac_f16_e32 v59, 0x3aee, v15
	v_mul_f16_e32 v15, -0.5, v56
	v_lshrrev_b32_e32 v133, 16, v150
	v_fmamk_f16 v58, v72, 0x3aee, v149
	v_fmac_f16_e32 v149, 0xbaee, v72
	s_waitcnt vmcnt(5)
	v_mul_f16_sdwa v167, v165, v19 dst_sel:DWORD dst_unused:UNUSED_PAD src0_sel:DWORD src1_sel:WORD_1
	v_fmac_f16_e32 v15, 0x3aee, v59
	v_mul_f16_sdwa v139, v133, v20 dst_sel:DWORD dst_unused:UNUSED_PAD src0_sel:DWORD src1_sel:WORD_1
	v_mul_f16_sdwa v169, v152, v19 dst_sel:DWORD dst_unused:UNUSED_PAD src0_sel:DWORD src1_sel:WORD_1
	;; [unrolled: 1-line block ×3, first 2 shown]
	s_waitcnt lgkmcnt(0)
	v_lshrrev_b32_e32 v161, 16, v144
	v_add_f16_e32 v72, v149, v15
	v_sub_f16_e32 v15, v149, v15
	ds_read2_b32 v[148:149], v96 offset0:128 offset1:248
	ds_read2_b32 v[153:154], v112 offset0:48 offset1:168
	;; [unrolled: 1-line block ×3, first 2 shown]
	v_mul_f16_sdwa v166, v161, v17 dst_sel:DWORD dst_unused:UNUSED_PAD src0_sel:DWORD src1_sel:WORD_1
	v_fma_f16 v146, v150, v20, -v139
	v_mul_f16_sdwa v150, v150, v20 dst_sel:DWORD dst_unused:UNUSED_PAD src0_sel:DWORD src1_sel:WORD_1
	v_mul_f16_sdwa v139, v141, v22 dst_sel:DWORD dst_unused:UNUSED_PAD src0_sel:DWORD src1_sel:WORD_1
	v_mul_f16_sdwa v162, v143, v21 dst_sel:DWORD dst_unused:UNUSED_PAD src0_sel:DWORD src1_sel:WORD_1
	v_fma_f16 v166, v144, v17, -v166
	v_mul_f16_sdwa v144, v144, v17 dst_sel:DWORD dst_unused:UNUSED_PAD src0_sel:DWORD src1_sel:WORD_1
	v_fmac_f16_e32 v150, v133, v20
	v_mul_f16_sdwa v133, v157, v137 dst_sel:DWORD dst_unused:UNUSED_PAD src0_sel:DWORD src1_sel:WORD_1
	v_fma_f16 v158, v76, v22, -v139
	v_lshrrev_b32_e32 v139, 16, v143
	v_fma_f16 v167, v152, v19, -v167
	v_fmac_f16_e32 v144, v161, v17
	v_fma_f16 v133, v140, v137, -v133
	v_fmac_f16_e32 v169, v165, v19
	v_mul_f16_sdwa v140, v139, v21 dst_sel:DWORD dst_unused:UNUSED_PAD src0_sel:DWORD src1_sel:WORD_1
	v_fmac_f16_e32 v162, v139, v21
	s_waitcnt lgkmcnt(2)
	v_lshrrev_b32_e32 v152, 16, v148
	s_waitcnt lgkmcnt(1)
	v_lshrrev_b32_e32 v161, 16, v153
	v_mul_f16_sdwa v139, v164, v23 dst_sel:DWORD dst_unused:UNUSED_PAD src0_sel:DWORD src1_sel:WORD_1
	s_waitcnt lgkmcnt(0)
	v_lshrrev_b32_e32 v170, 16, v155
	v_fma_f16 v143, v143, v21, -v140
	v_mul_f16_sdwa v171, v152, v18 dst_sel:DWORD dst_unused:UNUSED_PAD src0_sel:DWORD src1_sel:WORD_1
	s_waitcnt vmcnt(4)
	v_mul_f16_sdwa v172, v161, v127 dst_sel:DWORD dst_unused:UNUSED_PAD src0_sel:DWORD src1_sel:WORD_1
	v_fma_f16 v168, v151, v23, -v139
	ds_read2_b32 v[139:140], v118 offset1:120
	v_mul_f16_sdwa v173, v148, v18 dst_sel:DWORD dst_unused:UNUSED_PAD src0_sel:DWORD src1_sel:WORD_1
	v_mul_f16_sdwa v174, v153, v127 dst_sel:DWORD dst_unused:UNUSED_PAD src0_sel:DWORD src1_sel:WORD_1
	;; [unrolled: 1-line block ×3, first 2 shown]
	v_fma_f16 v148, v148, v18, -v171
	v_fma_f16 v171, v153, v127, -v172
	v_fmac_f16_e32 v173, v152, v18
	v_mul_f16_sdwa v172, v155, v16 dst_sel:DWORD dst_unused:UNUSED_PAD src0_sel:DWORD src1_sel:WORD_1
	v_fma_f16 v155, v155, v16, -v175
	v_fmac_f16_e32 v174, v161, v127
	v_add_f16_e32 v152, v148, v171
	v_add_f16_e32 v165, v166, v167
	v_fmac_f16_e32 v172, v170, v16
	v_add_f16_e32 v170, v155, v148
	v_add_f16_e32 v153, v173, v174
	v_fmac_f16_e32 v155, -0.5, v152
	v_sub_f16_e32 v152, v173, v174
	v_add_f16_e32 v173, v172, v173
	v_sub_f16_e32 v148, v148, v171
	v_fmac_f16_e32 v172, -0.5, v153
	v_mul_f16_sdwa v76, v76, v22 dst_sel:DWORD dst_unused:UNUSED_PAD src0_sel:DWORD src1_sel:WORD_1
	v_fmamk_f16 v176, v152, 0x3aee, v155
	v_fmac_f16_e32 v155, 0xbaee, v152
	s_waitcnt lgkmcnt(0)
	v_lshrrev_b32_e32 v161, 16, v140
	v_add_f16_e32 v175, v140, v166
	v_fmac_f16_e32 v140, -0.5, v165
	v_sub_f16_e32 v152, v144, v169
	v_fmamk_f16 v165, v148, 0xbaee, v172
	v_fmac_f16_e32 v172, 0x3aee, v148
	v_mul_f16_e32 v148, -0.5, v155
	v_mul_f16_sdwa v151, v151, v23 dst_sel:DWORD dst_unused:UNUSED_PAD src0_sel:DWORD src1_sel:WORD_1
	v_fmac_f16_e32 v76, v141, v22
	v_fmamk_f16 v177, v152, 0x3aee, v140
	v_fmac_f16_e32 v140, 0xbaee, v152
	v_fmac_f16_e32 v148, 0x3aee, v172
	;; [unrolled: 1-line block ×4, first 2 shown]
	v_lshrrev_b32_e32 v152, 16, v139
	v_add_f16_e32 v141, v143, v168
	v_add_f16_e32 v164, v140, v148
	v_sub_f16_e32 v178, v140, v148
	v_add_f16_e32 v140, v76, v163
	v_add_f16_e32 v148, v152, v162
	;; [unrolled: 1-line block ×4, first 2 shown]
	v_fma_f16 v141, -0.5, v141, v139
	v_fmac_f16_e32 v150, -0.5, v140
	v_add_f16_e32 v140, v146, v158
	v_sub_f16_e32 v158, v158, v133
	v_add_f16_e32 v139, v139, v143
	v_fmac_f16_e32 v146, -0.5, v153
	v_sub_f16_e32 v76, v76, v163
	v_add_f16_e32 v153, v162, v151
	v_sub_f16_e32 v162, v162, v151
	v_add_f16_e32 v151, v148, v151
	v_fmamk_f16 v148, v158, 0xbaee, v150
	v_fmamk_f16 v179, v76, 0x3aee, v146
	v_fmac_f16_e32 v152, -0.5, v153
	v_add_f16_e32 v139, v139, v168
	v_add_f16_e32 v133, v140, v133
	v_mul_f16_e32 v153, 0x3aee, v148
	v_add_f16_e32 v140, v157, v163
	v_sub_f16_e32 v143, v143, v168
	v_mul_f16_e32 v168, 0xbaee, v179
	v_fmac_f16_e32 v146, 0xbaee, v76
	v_fmac_f16_e32 v153, 0.5, v179
	v_add_f16_e32 v179, v139, v133
	v_add_f16_e32 v180, v151, v140
	v_fmac_f16_e32 v150, 0x3aee, v158
	v_fmac_f16_e32 v168, 0.5, v148
	v_add_lshl_u32 v148, v50, v12, 2
	v_mul_f16_e32 v12, -0.5, v146
	v_pack_b32_f16 v50, v179, v180
	v_mul_f16_e32 v179, -0.5, v150
	v_fmamk_f16 v157, v162, 0x3aee, v141
	v_fmamk_f16 v163, v143, 0xbaee, v152
	v_fmac_f16_e32 v141, 0xbaee, v162
	v_fmac_f16_e32 v12, 0x3aee, v150
	v_fmac_f16_e32 v152, 0x3aee, v143
	v_fmac_f16_e32 v179, 0xbaee, v146
	v_sub_f16_e32 v133, v139, v133
	v_sub_f16_e32 v139, v151, v140
	v_add_f16_e32 v140, v141, v12
	v_sub_f16_e32 v143, v157, v153
	v_add_f16_e32 v146, v152, v179
	v_sub_f16_e32 v12, v141, v12
	v_sub_f16_e32 v141, v163, v168
	v_pack_b32_f16 v133, v133, v139
	v_add_f16_e32 v158, v163, v168
	v_pack_b32_f16 v146, v140, v146
	v_add_f16_e32 v140, v161, v144
	;; [unrolled: 2-line block ×3, first 2 shown]
	v_sub_f16_e32 v144, v166, v167
	v_mul_f16_e32 v163, 0x3aee, v165
	v_add_f16_e32 v143, v140, v169
	v_mov_b32_e32 v140, 0x258
	v_fmac_f16_e32 v161, -0.5, v141
	v_mul_f16_e32 v166, 0xbaee, v176
	v_add_f16_e32 v162, v175, v167
	v_add_f16_e32 v167, v170, v171
	v_mul_u32_u24_sdwa v55, v55, v140 dst_sel:DWORD dst_unused:UNUSED_PAD src0_sel:WORD_0 src1_sel:DWORD
	v_add_f16_e32 v168, v173, v174
	v_fmac_f16_e32 v163, 0.5, v176
	v_fmac_f16_e32 v166, 0.5, v165
	v_add_f16_e32 v76, v157, v153
	v_add_lshl_u32 v140, v55, v57, 2
	v_fmamk_f16 v55, v144, 0xbaee, v161
	v_sub_f16_e32 v157, v152, v179
	v_mul_f16_e32 v169, -0.5, v172
	v_add_f16_e32 v57, v162, v167
	v_add_f16_e32 v165, v143, v168
	;; [unrolled: 1-line block ×4, first 2 shown]
	v_pack_b32_f16 v76, v76, v158
	v_pack_b32_f16 v12, v12, v157
	v_fmac_f16_e32 v161, 0x3aee, v144
	v_add_nc_u32_e32 v144, 0x400, v148
	v_fmac_f16_e32 v169, 0xbaee, v155
	v_add_nc_u32_e32 v141, 0x200, v148
	v_pack_b32_f16 v57, v57, v165
	v_pack_b32_f16 v155, v170, v171
	ds_read2_b32 v[150:151], v123 offset0:112 offset1:232
	ds_read2_b32 v[152:153], v117 offset0:32 offset1:152
	;; [unrolled: 1-line block ×3, first 2 shown]
	s_waitcnt vmcnt(0) lgkmcnt(0)
	s_barrier
	buffer_gl0_inv
	ds_write2_b32 v148, v50, v76 offset1:100
	ds_write2_b32 v141, v146, v133 offset0:72 offset1:172
	v_add_f16_e32 v50, v161, v169
	ds_write2_b32 v144, v139, v12 offset0:144 offset1:244
	ds_write2_b32 v140, v57, v155 offset1:100
	v_sub_f16_e32 v12, v162, v167
	v_sub_f16_e32 v57, v143, v168
	;; [unrolled: 1-line block ×5, first 2 shown]
	v_pack_b32_f16 v50, v164, v50
	v_pack_b32_f16 v12, v12, v57
	v_add_nc_u32_e32 v143, 0x200, v140
	v_pack_b32_f16 v55, v76, v55
	v_pack_b32_f16 v76, v178, v133
	v_lshrrev_b32_e32 v133, 16, v149
	v_lshrrev_b32_e32 v57, 16, v156
	v_add_nc_u32_e32 v146, 0x400, v140
	v_lshrrev_b32_e32 v155, 16, v154
	ds_write2_b32 v143, v50, v12 offset0:72 offset1:172
	v_mul_f16_sdwa v12, v133, v42 dst_sel:DWORD dst_unused:UNUSED_PAD src0_sel:DWORD src1_sel:WORD_1
	v_mul_f16_sdwa v139, v57, v40 dst_sel:DWORD dst_unused:UNUSED_PAD src0_sel:DWORD src1_sel:WORD_1
	ds_write2_b32 v146, v55, v76 offset0:144 offset1:244
	v_mul_f16_sdwa v55, v155, v131 dst_sel:DWORD dst_unused:UNUSED_PAD src0_sel:DWORD src1_sel:WORD_1
	v_mul_f16_sdwa v76, v156, v40 dst_sel:DWORD dst_unused:UNUSED_PAD src0_sel:DWORD src1_sel:WORD_1
	v_fma_f16 v12, v149, v42, -v12
	v_mul_f16_sdwa v149, v149, v42 dst_sel:DWORD dst_unused:UNUSED_PAD src0_sel:DWORD src1_sel:WORD_1
	v_fma_f16 v50, v156, v40, -v139
	v_fma_f16 v55, v154, v131, -v55
	v_mul_f16_sdwa v154, v154, v131 dst_sel:DWORD dst_unused:UNUSED_PAD src0_sel:DWORD src1_sel:WORD_1
	v_lshrrev_b32_e32 v156, 16, v153
	v_fmac_f16_e32 v149, v133, v42
	v_lshrrev_b32_e32 v133, 16, v152
	v_lshrrev_b32_e32 v139, 16, v147
	v_fmac_f16_e32 v154, v155, v131
	v_mul_f16_sdwa v155, v152, v41 dst_sel:DWORD dst_unused:UNUSED_PAD src0_sel:DWORD src1_sel:WORD_1
	v_mul_f16_sdwa v162, v156, v33 dst_sel:DWORD dst_unused:UNUSED_PAD src0_sel:DWORD src1_sel:WORD_1
	;; [unrolled: 1-line block ×3, first 2 shown]
	v_lshrrev_b32_e32 v163, 16, v142
	v_lshrrev_b32_e32 v164, 16, v158
	v_fmac_f16_e32 v155, v133, v41
	v_lshrrev_b32_e32 v165, 16, v145
	v_fma_f16 v133, v152, v41, -v161
	v_fma_f16 v152, v153, v33, -v162
	v_lshrrev_b32_e32 v162, 16, v157
	v_fmac_f16_e32 v76, v57, v40
	v_mul_f16_sdwa v57, v139, v32 dst_sel:DWORD dst_unused:UNUSED_PAD src0_sel:DWORD src1_sel:WORD_1
	v_mul_f16_sdwa v161, v163, v34 dst_sel:DWORD dst_unused:UNUSED_PAD src0_sel:DWORD src1_sel:WORD_1
	v_mul_f16_sdwa v167, v164, v35 dst_sel:DWORD dst_unused:UNUSED_PAD src0_sel:DWORD src1_sel:WORD_1
	v_mul_f16_sdwa v166, v162, v43 dst_sel:DWORD dst_unused:UNUSED_PAD src0_sel:DWORD src1_sel:WORD_1
	v_mul_f16_sdwa v168, v165, v129 dst_sel:DWORD dst_unused:UNUSED_PAD src0_sel:DWORD src1_sel:WORD_1
	v_fma_f16 v57, v147, v32, -v57
	v_mul_f16_sdwa v147, v147, v32 dst_sel:DWORD dst_unused:UNUSED_PAD src0_sel:DWORD src1_sel:WORD_1
	v_fma_f16 v161, v142, v34, -v161
	v_mul_f16_sdwa v142, v142, v34 dst_sel:DWORD dst_unused:UNUSED_PAD src0_sel:DWORD src1_sel:WORD_1
	v_mul_f16_sdwa v169, v157, v43 dst_sel:DWORD dst_unused:UNUSED_PAD src0_sel:DWORD src1_sel:WORD_1
	v_fma_f16 v157, v157, v43, -v166
	v_fma_f16 v166, v158, v35, -v167
	;; [unrolled: 1-line block ×3, first 2 shown]
	v_mul_f16_sdwa v145, v145, v129 dst_sel:DWORD dst_unused:UNUSED_PAD src0_sel:DWORD src1_sel:WORD_1
	v_mul_f16_sdwa v153, v153, v33 dst_sel:DWORD dst_unused:UNUSED_PAD src0_sel:DWORD src1_sel:WORD_1
	;; [unrolled: 1-line block ×3, first 2 shown]
	v_fmac_f16_e32 v147, v139, v32
	v_fmac_f16_e32 v142, v163, v34
	;; [unrolled: 1-line block ×3, first 2 shown]
	v_add_f16_e32 v139, v161, v167
	v_fmac_f16_e32 v153, v156, v33
	v_fmac_f16_e32 v158, v164, v35
	v_add_f16_e32 v156, v152, v166
	v_add_f16_e32 v164, v57, v161
	;; [unrolled: 1-line block ×3, first 2 shown]
	v_fmac_f16_e32 v57, -0.5, v139
	v_sub_f16_e32 v139, v142, v145
	v_lshrrev_b32_e32 v163, 16, v151
	v_add_f16_e32 v168, v151, v152
	v_add_f16_e32 v142, v147, v142
	v_fmac_f16_e32 v147, -0.5, v165
	v_fmamk_f16 v165, v139, 0x3aee, v57
	v_fmac_f16_e32 v57, 0xbaee, v139
	v_fmac_f16_e32 v151, -0.5, v156
	v_sub_f16_e32 v139, v153, v158
	v_add_f16_e32 v170, v133, v157
	v_fmac_f16_e32 v169, v162, v43
	v_lshrrev_b32_e32 v171, 16, v150
	v_add_f16_e32 v172, v12, v55
	v_fmamk_f16 v162, v139, 0x3aee, v151
	v_fmac_f16_e32 v151, 0xbaee, v139
	v_fma_f16 v139, -0.5, v170, v150
	v_add_f16_e32 v170, v149, v154
	v_add_f16_e32 v150, v150, v133
	v_add_f16_e32 v173, v76, v149
	v_sub_f16_e32 v149, v149, v154
	v_add_f16_e32 v174, v155, v169
	v_fmac_f16_e32 v76, -0.5, v170
	v_add_f16_e32 v170, v50, v12
	v_sub_f16_e32 v12, v12, v55
	v_fmac_f16_e32 v50, -0.5, v172
	v_add_f16_e32 v172, v171, v155
	v_sub_f16_e32 v155, v155, v169
	v_add_f16_e32 v150, v150, v157
	v_fmamk_f16 v175, v12, 0xbaee, v76
	v_fmamk_f16 v176, v149, 0x3aee, v50
	v_add_f16_e32 v169, v172, v169
	v_add_f16_e32 v55, v170, v55
	;; [unrolled: 1-line block ×3, first 2 shown]
	v_fmac_f16_e32 v171, -0.5, v174
	v_mul_f16_e32 v172, 0x3aee, v175
	v_mul_f16_e32 v174, 0xbaee, v176
	v_sub_f16_e32 v133, v133, v157
	v_add_f16_e32 v54, v150, v55
	v_add_f16_e32 v157, v169, v154
	v_fmac_f16_e32 v50, 0xbaee, v149
	v_fmac_f16_e32 v76, 0x3aee, v12
	v_fmac_f16_e32 v172, 0.5, v176
	v_fmac_f16_e32 v174, 0.5, v175
	v_fmamk_f16 v170, v155, 0x3aee, v139
	v_fmamk_f16 v12, v133, 0xbaee, v171
	v_pack_b32_f16 v54, v54, v157
	v_mul_f16_e32 v157, -0.5, v50
	v_mul_f16_e32 v173, -0.5, v76
	v_add_f16_e32 v149, v170, v172
	v_add_f16_e32 v175, v12, v174
	v_fmac_f16_e32 v139, 0xbaee, v155
	v_fmac_f16_e32 v171, 0x3aee, v133
	;; [unrolled: 1-line block ×4, first 2 shown]
	v_pack_b32_f16 v50, v149, v175
	v_lshlrev_b32_sdwa v149, v13, v51 dst_sel:DWORD dst_unused:UNUSED_PAD src0_sel:DWORD src1_sel:WORD_0
	v_sub_f16_e32 v51, v150, v55
	v_add_f16_e32 v55, v139, v157
	v_add_f16_e32 v76, v171, v173
	v_sub_f16_e32 v133, v169, v154
	v_sub_f16_e32 v161, v161, v167
	ds_write2_b32 v149, v54, v50 offset1:100
	v_add_nc_u32_e32 v150, 0x200, v149
	v_pack_b32_f16 v50, v55, v76
	v_pack_b32_f16 v51, v51, v133
	v_fmamk_f16 v156, v161, 0xbaee, v147
	v_fmac_f16_e32 v147, 0x3aee, v161
	v_mul_f16_e32 v161, -0.5, v57
	v_sub_f16_e32 v54, v170, v172
	v_sub_f16_e32 v55, v139, v157
	;; [unrolled: 1-line block ×4, first 2 shown]
	ds_write2_b32 v150, v50, v51 offset0:72 offset1:172
	v_add_f16_e32 v50, v163, v153
	v_add_f16_e32 v51, v153, v158
	v_fmac_f16_e32 v161, 0x3aee, v147
	v_pack_b32_f16 v12, v54, v12
	v_pack_b32_f16 v54, v55, v76
	v_add_f16_e32 v50, v50, v158
	v_fmac_f16_e32 v163, -0.5, v51
	v_add_f16_e32 v51, v168, v166
	v_mul_f16_e32 v55, 0x3aee, v156
	v_mul_f16_e32 v76, 0xbaee, v165
	v_add_f16_e32 v133, v164, v167
	v_sub_f16_e32 v152, v152, v166
	v_add_f16_e32 v142, v142, v145
	v_mul_f16_e32 v147, -0.5, v147
	v_fmac_f16_e32 v55, 0.5, v165
	v_fmac_f16_e32 v76, 0.5, v156
	v_add_f16_e32 v145, v51, v133
	v_add_f16_e32 v153, v50, v142
	v_fmamk_f16 v53, v152, 0xbaee, v163
	v_fmac_f16_e32 v163, 0x3aee, v152
	v_fmac_f16_e32 v147, 0xbaee, v57
	v_add_f16_e32 v154, v151, v161
	v_add_nc_u32_e32 v139, 0x400, v149
	v_pack_b32_f16 v57, v145, v153
	v_add_f16_e32 v152, v162, v55
	v_add_f16_e32 v153, v53, v76
	v_sub_f16_e32 v51, v51, v133
	v_add_f16_e32 v133, v163, v147
	v_sub_f16_e32 v50, v50, v142
	v_lshlrev_b32_sdwa v145, v13, v14 dst_sel:DWORD dst_unused:UNUSED_PAD src0_sel:DWORD src1_sel:WORD_0
	v_pack_b32_f16 v14, v152, v153
	ds_write2_b32 v139, v12, v54 offset0:144 offset1:244
	v_pack_b32_f16 v12, v154, v133
	v_pack_b32_f16 v50, v51, v50
	v_add_nc_u32_e32 v142, 0x200, v145
	v_sub_f16_e32 v151, v151, v161
	ds_write2_b32 v145, v57, v14 offset1:100
	v_sub_f16_e32 v14, v162, v55
	v_sub_f16_e32 v51, v53, v76
	;; [unrolled: 1-line block ×3, first 2 shown]
	ds_write2_b32 v142, v12, v50 offset0:72 offset1:172
	v_add_f16_e32 v50, v61, v62
	v_add_f16_e32 v12, v52, v61
	v_pack_b32_f16 v14, v14, v51
	v_pack_b32_f16 v51, v151, v53
	v_sub_f16_e32 v53, v60, v63
	v_fmac_f16_e32 v52, -0.5, v50
	v_mul_f16_e32 v54, 0x3aee, v73
	v_mul_f16_e32 v57, 0xbaee, v75
	v_add_f16_e32 v12, v12, v62
	v_add_f16_e32 v50, v159, v63
	;; [unrolled: 1-line block ×4, first 2 shown]
	v_fmac_f16_e32 v54, 0.5, v75
	v_mul_f16_e32 v49, -0.5, v59
	v_fmac_f16_e32 v57, 0.5, v73
	v_fmamk_f16 v61, v53, 0xbaee, v52
	v_add_f16_e32 v59, v50, v55
	v_fmac_f16_e32 v52, 0x3aee, v53
	v_fmac_f16_e32 v49, 0xbaee, v56
	v_add_f16_e32 v53, v12, v60
	v_add_f16_e32 v56, v58, v54
	v_add_f16_e32 v62, v61, v57
	v_sub_f16_e32 v50, v50, v55
	v_sub_f16_e32 v12, v12, v60
	v_add_f16_e32 v55, v52, v49
	v_lshlrev_b32_sdwa v151, v13, v48 dst_sel:DWORD dst_unused:UNUSED_PAD src0_sel:DWORD src1_sel:WORD_0
	v_pack_b32_f16 v48, v56, v62
	v_add_nc_u32_e32 v147, 0x400, v145
	v_pack_b32_f16 v12, v50, v12
	v_sub_f16_e32 v50, v58, v54
	v_sub_f16_e32 v54, v61, v57
	v_mad_u64_u32 v[56:57], null, v113, 20, s[2:3]
	v_pack_b32_f16 v13, v59, v53
	v_pack_b32_f16 v53, v72, v55
	v_add_nc_u32_e32 v152, 0x200, v151
	v_sub_f16_e32 v49, v52, v49
	ds_write2_b32 v147, v14, v51 offset0:144 offset1:244
	ds_write2_b32 v151, v13, v48 offset1:100
	ds_write2_b32 v152, v53, v12 offset0:72 offset1:172
	v_add_co_u32 v48, vcc_lo, 0x2800, v56
	v_pack_b32_f16 v12, v50, v54
	v_pack_b32_f16 v13, v15, v49
	v_add_nc_u32_e32 v153, 0x400, v151
	v_add_co_ci_u32_e32 v49, vcc_lo, 0, v57, vcc_lo
	v_add_co_u32 v52, vcc_lo, 0x800, v56
	ds_write2_b32 v153, v12, v13 offset0:144 offset1:244
	s_waitcnt lgkmcnt(0)
	s_barrier
	buffer_gl0_inv
	s_clause 0x1
	global_load_dwordx4 v[12:15], v[48:49], off offset:1720
	global_load_dword v133, v[48:49], off offset:1736
	v_add_co_ci_u32_e32 v53, vcc_lo, 0, v57, vcc_lo
	s_clause 0x1
	global_load_dwordx4 v[48:51], v[52:53], off offset:312
	global_load_dword v157, v[52:53], off offset:328
	v_add_co_u32 v58, vcc_lo, 0x1000, v56
	v_add_co_ci_u32_e32 v59, vcc_lo, 0, v57, vcc_lo
	s_clause 0x1
	global_load_dwordx4 v[52:55], v[58:59], off offset:664
	global_load_dword v159, v[58:59], off offset:680
	v_add_co_u32 v58, vcc_lo, 0x1800, v56
	v_add_co_ci_u32_e32 v59, vcc_lo, 0, v57, vcc_lo
	v_add_co_u32 v70, vcc_lo, 0x2000, v56
	v_add_co_ci_u32_e32 v71, vcc_lo, 0, v57, vcc_lo
	s_clause 0x3
	global_load_dwordx4 v[60:63], v[58:59], off offset:1016
	global_load_dword v160, v[58:59], off offset:1032
	global_load_dwordx4 v[56:59], v[70:71], off offset:1368
	global_load_dword v154, v[70:71], off offset:1384
	ds_read2_b32 v[71:72], v116 offset0:16 offset1:136
	ds_read2_b32 v[73:74], v107 offset0:64 offset1:184
	;; [unrolled: 1-line block ×5, first 2 shown]
	s_mov_b32 s2, 0x789abcdf
	s_mov_b32 s3, 0x3f323456
	s_waitcnt lgkmcnt(4)
	v_lshrrev_b32_e32 v70, 16, v71
	s_waitcnt lgkmcnt(3)
	v_lshrrev_b32_e32 v158, 16, v73
	v_lshrrev_b32_e32 v184, 16, v74
	s_waitcnt vmcnt(9)
	v_mul_f16_sdwa v165, v158, v15 dst_sel:DWORD dst_unused:UNUSED_PAD src0_sel:DWORD src1_sel:WORD_1
	v_mul_f16_sdwa v171, v71, v13 dst_sel:DWORD dst_unused:UNUSED_PAD src0_sel:DWORD src1_sel:WORD_1
	;; [unrolled: 1-line block ×4, first 2 shown]
	s_waitcnt lgkmcnt(2)
	v_mul_f16_sdwa v167, v76, v14 dst_sel:DWORD dst_unused:UNUSED_PAD src0_sel:DWORD src1_sel:WORD_1
	v_fma_f16 v174, v73, v15, -v165
	v_fmac_f16_e32 v171, v70, v13
	v_lshrrev_b32_e32 v70, 16, v76
	s_waitcnt lgkmcnt(1)
	v_lshrrev_b32_e32 v73, 16, v156
	v_fma_f16 v173, v71, v13, -v163
	ds_read2_b32 v[163:164], v102 offset0:96 offset1:216
	s_waitcnt lgkmcnt(1)
	v_lshrrev_b32_e32 v165, 16, v162
	v_mul_f16_sdwa v71, v70, v14 dst_sel:DWORD dst_unused:UNUSED_PAD src0_sel:DWORD src1_sel:WORD_1
	s_waitcnt vmcnt(8)
	v_mul_f16_sdwa v166, v73, v133 dst_sel:DWORD dst_unused:UNUSED_PAD src0_sel:DWORD src1_sel:WORD_1
	v_mul_f16_sdwa v175, v156, v133 dst_sel:DWORD dst_unused:UNUSED_PAD src0_sel:DWORD src1_sel:WORD_1
	v_fmac_f16_e32 v167, v70, v14
	v_mul_f16_sdwa v168, v165, v12 dst_sel:DWORD dst_unused:UNUSED_PAD src0_sel:DWORD src1_sel:WORD_1
	v_fma_f16 v76, v76, v14, -v71
	v_fma_f16 v176, v156, v133, -v166
	v_mul_f16_sdwa v177, v162, v12 dst_sel:DWORD dst_unused:UNUSED_PAD src0_sel:DWORD src1_sel:WORD_1
	v_fmac_f16_e32 v175, v73, v133
	v_fma_f16 v71, v162, v12, -v168
	v_fmac_f16_e32 v172, v158, v15
	v_add_f16_e32 v73, v76, v176
	v_fmac_f16_e32 v177, v165, v12
	v_add_f16_e32 v156, v167, v175
	v_add_f16_e32 v158, v173, v174
	;; [unrolled: 1-line block ×3, first 2 shown]
	v_fmac_f16_e32 v71, -0.5, v73
	v_sub_f16_e32 v73, v167, v175
	v_add_f16_e32 v180, v177, v167
	v_fmac_f16_e32 v177, -0.5, v156
	v_sub_f16_e32 v76, v76, v176
	s_waitcnt lgkmcnt(0)
	v_lshrrev_b32_e32 v70, 16, v163
	v_add_f16_e32 v179, v163, v173
	v_fmamk_f16 v181, v73, 0x3aee, v71
	v_fmac_f16_e32 v71, 0xbaee, v73
	v_fmac_f16_e32 v163, -0.5, v158
	v_sub_f16_e32 v73, v171, v172
	v_fmamk_f16 v182, v76, 0xbaee, v177
	v_fmac_f16_e32 v177, 0x3aee, v76
	v_lshrrev_b32_e32 v76, 16, v164
	v_mul_f16_e32 v156, -0.5, v71
	v_fmamk_f16 v183, v73, 0x3aee, v163
	v_fmac_f16_e32 v163, 0xbaee, v73
	ds_read2_b32 v[167:168], v110 offset0:96 offset1:216
	s_waitcnt vmcnt(7)
	v_mul_f16_sdwa v73, v76, v48 dst_sel:DWORD dst_unused:UNUSED_PAD src0_sel:DWORD src1_sel:WORD_1
	v_lshrrev_b32_e32 v158, 16, v72
	ds_read2_b32 v[165:166], v99 offset0:48 offset1:168
	v_fmac_f16_e32 v156, 0x3aee, v177
	v_mul_f16_sdwa v186, v164, v48 dst_sel:DWORD dst_unused:UNUSED_PAD src0_sel:DWORD src1_sel:WORD_1
	v_fma_f16 v185, v164, v48, -v73
	v_mul_f16_sdwa v73, v158, v50 dst_sel:DWORD dst_unused:UNUSED_PAD src0_sel:DWORD src1_sel:WORD_1
	s_waitcnt vmcnt(6)
	v_mul_f16_sdwa v162, v184, v157 dst_sel:DWORD dst_unused:UNUSED_PAD src0_sel:DWORD src1_sel:WORD_1
	v_add_f16_e32 v187, v163, v156
	v_sub_f16_e32 v188, v163, v156
	v_fmac_f16_e32 v186, v76, v48
	v_fma_f16 v76, v72, v50, -v73
	v_mul_f16_sdwa v156, v72, v50 dst_sel:DWORD dst_unused:UNUSED_PAD src0_sel:DWORD src1_sel:WORD_1
	v_fma_f16 v189, v74, v157, -v162
	ds_read2_b32 v[72:73], v96 offset0:128 offset1:248
	ds_read2_b32 v[162:163], v112 offset0:48 offset1:168
	ds_read2_b32 v[169:170], v121 offset0:80 offset1:200
	v_mul_f16_sdwa v74, v74, v157 dst_sel:DWORD dst_unused:UNUSED_PAD src0_sel:DWORD src1_sel:WORD_1
	v_fmac_f16_e32 v156, v158, v50
	s_waitcnt lgkmcnt(4)
	v_lshrrev_b32_e32 v193, 16, v168
	v_lshrrev_b32_e32 v192, 16, v167
	s_waitcnt vmcnt(5)
	v_mul_f16_sdwa v198, v168, v55 dst_sel:DWORD dst_unused:UNUSED_PAD src0_sel:DWORD src1_sel:WORD_1
	s_waitcnt lgkmcnt(3)
	v_lshrrev_b32_e32 v191, 16, v166
	v_mul_f16_sdwa v197, v166, v53 dst_sel:DWORD dst_unused:UNUSED_PAD src0_sel:DWORD src1_sel:WORD_1
	v_mul_f16_sdwa v196, v193, v55 dst_sel:DWORD dst_unused:UNUSED_PAD src0_sel:DWORD src1_sel:WORD_1
	v_lshrrev_b32_e32 v164, 16, v165
	v_mul_f16_sdwa v190, v165, v49 dst_sel:DWORD dst_unused:UNUSED_PAD src0_sel:DWORD src1_sel:WORD_1
	v_mul_f16_sdwa v195, v191, v53 dst_sel:DWORD dst_unused:UNUSED_PAD src0_sel:DWORD src1_sel:WORD_1
	v_fmac_f16_e32 v197, v191, v53
	v_fma_f16 v196, v168, v55, -v196
	v_mul_f16_sdwa v194, v164, v49 dst_sel:DWORD dst_unused:UNUSED_PAD src0_sel:DWORD src1_sel:WORD_1
	v_fmac_f16_e32 v190, v164, v49
	v_mul_f16_sdwa v164, v192, v51 dst_sel:DWORD dst_unused:UNUSED_PAD src0_sel:DWORD src1_sel:WORD_1
	s_waitcnt lgkmcnt(2)
	v_lshrrev_b32_e32 v168, 16, v72
	s_waitcnt lgkmcnt(1)
	v_lshrrev_b32_e32 v191, 16, v162
	;; [unrolled: 2-line block ×3, first 2 shown]
	v_fma_f16 v194, v165, v49, -v194
	v_fma_f16 v195, v166, v53, -v195
	v_mul_f16_sdwa v200, v168, v54 dst_sel:DWORD dst_unused:UNUSED_PAD src0_sel:DWORD src1_sel:WORD_1
	s_waitcnt vmcnt(4)
	v_mul_f16_sdwa v201, v191, v159 dst_sel:DWORD dst_unused:UNUSED_PAD src0_sel:DWORD src1_sel:WORD_1
	v_fma_f16 v166, v167, v51, -v164
	ds_read2_b32 v[164:165], v118 offset1:120
	v_mul_f16_sdwa v202, v72, v54 dst_sel:DWORD dst_unused:UNUSED_PAD src0_sel:DWORD src1_sel:WORD_1
	v_mul_f16_sdwa v203, v162, v159 dst_sel:DWORD dst_unused:UNUSED_PAD src0_sel:DWORD src1_sel:WORD_1
	;; [unrolled: 1-line block ×3, first 2 shown]
	v_fma_f16 v72, v72, v54, -v200
	v_fma_f16 v162, v162, v159, -v201
	v_fmac_f16_e32 v202, v168, v54
	v_mul_f16_sdwa v200, v169, v52 dst_sel:DWORD dst_unused:UNUSED_PAD src0_sel:DWORD src1_sel:WORD_1
	v_fma_f16 v201, v169, v52, -v204
	v_fmac_f16_e32 v203, v191, v159
	v_add_f16_e32 v168, v72, v162
	v_fmac_f16_e32 v198, v193, v55
	v_fmac_f16_e32 v200, v199, v52
	v_add_f16_e32 v169, v201, v72
	v_add_f16_e32 v199, v202, v203
	v_fmac_f16_e32 v201, -0.5, v168
	v_sub_f16_e32 v168, v202, v203
	v_add_f16_e32 v193, v195, v196
	v_add_f16_e32 v202, v200, v202
	v_fmac_f16_e32 v200, -0.5, v199
	v_sub_f16_e32 v72, v72, v162
	v_fmamk_f16 v199, v168, 0x3aee, v201
	v_fmac_f16_e32 v201, 0xbaee, v168
	v_mul_f16_sdwa v167, v167, v51 dst_sel:DWORD dst_unused:UNUSED_PAD src0_sel:DWORD src1_sel:WORD_1
	s_waitcnt lgkmcnt(0)
	v_lshrrev_b32_e32 v191, 16, v165
	v_add_f16_e32 v204, v165, v195
	v_fmac_f16_e32 v165, -0.5, v193
	v_sub_f16_e32 v168, v197, v198
	v_fmamk_f16 v193, v72, 0xbaee, v200
	v_fmac_f16_e32 v200, 0x3aee, v72
	v_mul_f16_e32 v72, -0.5, v201
	v_add_f16_e32 v205, v194, v166
	v_fmamk_f16 v158, v168, 0x3aee, v165
	v_fmac_f16_e32 v165, 0xbaee, v168
	v_fmac_f16_e32 v167, v192, v51
	;; [unrolled: 1-line block ×4, first 2 shown]
	v_fma_f16 v168, -0.5, v205, v164
	v_lshrrev_b32_e32 v184, 16, v164
	v_add_f16_e32 v164, v164, v194
	v_add_f16_e32 v192, v165, v72
	;; [unrolled: 1-line block ×3, first 2 shown]
	v_sub_f16_e32 v72, v165, v72
	v_add_f16_e32 v165, v184, v190
	v_sub_f16_e32 v190, v190, v167
	v_add_f16_e32 v164, v164, v166
	;; [unrolled: 2-line block ×3, first 2 shown]
	v_add_f16_e32 v206, v156, v74
	v_fmac_f16_e32 v184, -0.5, v205
	v_fmamk_f16 v205, v190, 0x3aee, v168
	v_fmac_f16_e32 v168, 0xbaee, v190
	v_add_f16_e32 v190, v185, v76
	v_fmac_f16_e32 v185, -0.5, v194
	v_add_f16_e32 v194, v186, v156
	v_fmac_f16_e32 v186, -0.5, v206
	v_sub_f16_e32 v76, v76, v189
	v_sub_f16_e32 v156, v156, v74
	v_add_f16_e32 v165, v165, v167
	v_fmamk_f16 v167, v166, 0xbaee, v184
	v_fmac_f16_e32 v184, 0x3aee, v166
	v_fmamk_f16 v166, v76, 0xbaee, v186
	v_fmamk_f16 v206, v156, 0x3aee, v185
	v_fmac_f16_e32 v185, 0xbaee, v156
	v_fmac_f16_e32 v186, 0x3aee, v76
	v_add_f16_e32 v76, v190, v189
	v_mul_f16_e32 v156, 0x3aee, v166
	v_mul_f16_e32 v189, 0xbaee, v206
	v_mul_f16_e32 v190, -0.5, v185
	v_mul_f16_e32 v207, -0.5, v186
	v_add_f16_e32 v74, v194, v74
	v_fmac_f16_e32 v156, 0.5, v206
	v_fmac_f16_e32 v189, 0.5, v166
	v_fmac_f16_e32 v190, 0x3aee, v186
	v_fmac_f16_e32 v207, 0xbaee, v185
	v_add_f16_e32 v166, v164, v76
	v_sub_f16_e32 v76, v164, v76
	v_add_f16_e32 v164, v205, v156
	v_add_f16_e32 v185, v168, v190
	v_sub_f16_e32 v186, v168, v190
	v_add_f16_e32 v168, v165, v74
	v_sub_f16_e32 v74, v165, v74
	v_add_f16_e32 v165, v167, v189
	v_add_f16_e32 v190, v184, v207
	v_sub_f16_e32 v156, v205, v156
	v_sub_f16_e32 v189, v167, v189
	v_add_f16_e32 v167, v191, v197
	v_sub_f16_e32 v184, v184, v207
	v_add_f16_e32 v194, v202, v203
	v_pack_b32_f16 v202, v164, v165
	v_pack_b32_f16 v185, v185, v190
	;; [unrolled: 1-line block ×3, first 2 shown]
	v_add_f16_e32 v162, v169, v162
	v_pack_b32_f16 v203, v166, v168
	ds_read2_b32 v[164:165], v123 offset0:112 offset1:232
	v_add_f16_e32 v205, v167, v198
	ds_read2_b32 v[166:167], v117 offset0:32 offset1:152
	ds_read2_b32 v[168:169], v94 offset0:80 offset1:200
	v_pack_b32_f16 v76, v156, v189
	v_pack_b32_f16 v156, v186, v184
	v_add_f16_e32 v204, v204, v196
	ds_write_b32 v118, v202 offset:2400
	ds_write_b32 v118, v185 offset:4800
	v_lshrrev_b32_e32 v185, 16, v170
	ds_write_b32 v118, v74 offset:7200
	ds_write_b32 v118, v76 offset:9600
	ds_write_b32 v118, v156 offset:12000
	v_lshrrev_b32_e32 v74, 16, v73
	v_add_f16_e32 v202, v204, v162
	v_add_f16_e32 v206, v205, v194
	s_waitcnt vmcnt(3)
	v_mul_f16_sdwa v76, v185, v60 dst_sel:DWORD dst_unused:UNUSED_PAD src0_sel:DWORD src1_sel:WORD_1
	v_lshrrev_b32_e32 v156, 16, v163
	v_mul_f16_sdwa v186, v74, v62 dst_sel:DWORD dst_unused:UNUSED_PAD src0_sel:DWORD src1_sel:WORD_1
	v_lshrrev_b32_e32 v207, 16, v155
	v_pack_b32_f16 v184, v202, v206
	v_fma_f16 v76, v170, v60, -v76
	s_waitcnt vmcnt(2)
	v_mul_f16_sdwa v189, v156, v160 dst_sel:DWORD dst_unused:UNUSED_PAD src0_sel:DWORD src1_sel:WORD_1
	v_mul_f16_sdwa v170, v170, v60 dst_sel:DWORD dst_unused:UNUSED_PAD src0_sel:DWORD src1_sel:WORD_1
	v_fma_f16 v186, v73, v62, -v186
	v_mul_f16_sdwa v73, v73, v62 dst_sel:DWORD dst_unused:UNUSED_PAD src0_sel:DWORD src1_sel:WORD_1
	ds_write2_b32 v118, v203, v184 offset1:120
	v_lshrrev_b32_e32 v184, 16, v161
	v_fma_f16 v189, v163, v160, -v189
	v_mul_f16_sdwa v163, v163, v160 dst_sel:DWORD dst_unused:UNUSED_PAD src0_sel:DWORD src1_sel:WORD_1
	v_fmac_f16_e32 v170, v185, v60
	s_waitcnt lgkmcnt(7)
	v_lshrrev_b32_e32 v185, 16, v166
	v_fmac_f16_e32 v73, v74, v62
	v_lshrrev_b32_e32 v74, 16, v167
	s_waitcnt vmcnt(1)
	v_mul_f16_sdwa v190, v184, v56 dst_sel:DWORD dst_unused:UNUSED_PAD src0_sel:DWORD src1_sel:WORD_1
	v_fmac_f16_e32 v163, v156, v160
	v_mul_f16_sdwa v156, v166, v61 dst_sel:DWORD dst_unused:UNUSED_PAD src0_sel:DWORD src1_sel:WORD_1
	v_mul_f16_sdwa v202, v185, v61 dst_sel:DWORD dst_unused:UNUSED_PAD src0_sel:DWORD src1_sel:WORD_1
	v_mul_f16_sdwa v206, v74, v57 dst_sel:DWORD dst_unused:UNUSED_PAD src0_sel:DWORD src1_sel:WORD_1
	v_fma_f16 v190, v161, v56, -v190
	v_mul_f16_sdwa v161, v161, v56 dst_sel:DWORD dst_unused:UNUSED_PAD src0_sel:DWORD src1_sel:WORD_1
	v_lshrrev_b32_e32 v203, 16, v75
	v_fmac_f16_e32 v156, v185, v61
	v_fma_f16 v166, v166, v61, -v202
	v_fma_f16 v185, v167, v57, -v206
	s_waitcnt lgkmcnt(6)
	v_lshrrev_b32_e32 v202, 16, v168
	v_lshrrev_b32_e32 v206, 16, v169
	v_fmac_f16_e32 v161, v184, v56
	v_mul_f16_sdwa v184, v203, v58 dst_sel:DWORD dst_unused:UNUSED_PAD src0_sel:DWORD src1_sel:WORD_1
	v_mul_f16_sdwa v208, v168, v63 dst_sel:DWORD dst_unused:UNUSED_PAD src0_sel:DWORD src1_sel:WORD_1
	;; [unrolled: 1-line block ×4, first 2 shown]
	s_waitcnt vmcnt(0)
	v_mul_f16_sdwa v211, v207, v154 dst_sel:DWORD dst_unused:UNUSED_PAD src0_sel:DWORD src1_sel:WORD_1
	v_mul_f16_sdwa v167, v167, v57 dst_sel:DWORD dst_unused:UNUSED_PAD src0_sel:DWORD src1_sel:WORD_1
	v_fma_f16 v184, v75, v58, -v184
	v_mul_f16_sdwa v75, v75, v58 dst_sel:DWORD dst_unused:UNUSED_PAD src0_sel:DWORD src1_sel:WORD_1
	v_fmac_f16_e32 v208, v202, v63
	v_fma_f16 v168, v168, v63, -v209
	v_fma_f16 v202, v169, v59, -v210
	;; [unrolled: 1-line block ×3, first 2 shown]
	v_mul_f16_sdwa v210, v155, v154 dst_sel:DWORD dst_unused:UNUSED_PAD src0_sel:DWORD src1_sel:WORD_1
	v_add_f16_e32 v155, v197, v198
	v_mul_f16_e32 v197, 0xbaee, v199
	v_mul_f16_sdwa v169, v169, v59 dst_sel:DWORD dst_unused:UNUSED_PAD src0_sel:DWORD src1_sel:WORD_1
	v_fmac_f16_e32 v167, v74, v57
	v_fmac_f16_e32 v75, v203, v58
	v_mul_f16_e32 v74, 0x3aee, v193
	v_fmac_f16_e32 v210, v207, v154
	v_fmac_f16_e32 v197, 0.5, v193
	v_add_f16_e32 v193, v184, v209
	v_fmac_f16_e32 v169, v206, v59
	v_fmac_f16_e32 v191, -0.5, v155
	v_sub_f16_e32 v155, v195, v196
	v_fmac_f16_e32 v74, 0.5, v199
	v_add_f16_e32 v195, v185, v202
	v_add_f16_e32 v198, v190, v184
	;; [unrolled: 1-line block ×3, first 2 shown]
	v_fmac_f16_e32 v190, -0.5, v193
	v_sub_f16_e32 v193, v75, v210
	v_lshrrev_b32_e32 v196, 16, v165
	v_add_f16_e32 v203, v165, v185
	v_add_f16_e32 v75, v161, v75
	v_fmac_f16_e32 v161, -0.5, v199
	v_sub_f16_e32 v184, v184, v209
	v_fmamk_f16 v199, v193, 0x3aee, v190
	v_fmac_f16_e32 v190, 0xbaee, v193
	v_fmac_f16_e32 v165, -0.5, v195
	v_sub_f16_e32 v193, v167, v169
	v_fmamk_f16 v195, v184, 0xbaee, v161
	v_fmac_f16_e32 v161, 0x3aee, v184
	v_mul_f16_e32 v184, -0.5, v190
	v_sub_f16_e32 v194, v205, v194
	v_fmamk_f16 v205, v193, 0x3aee, v165
	v_fmac_f16_e32 v165, 0xbaee, v193
	v_add_f16_e32 v193, v73, v163
	v_add_f16_e32 v206, v186, v189
	v_fmac_f16_e32 v184, 0x3aee, v161
	v_add_f16_e32 v207, v76, v186
	v_add_f16_e32 v211, v170, v73
	v_fmac_f16_e32 v170, -0.5, v193
	v_sub_f16_e32 v186, v186, v189
	v_fmac_f16_e32 v76, -0.5, v206
	v_sub_f16_e32 v73, v73, v163
	v_sub_f16_e32 v162, v204, v162
	v_add_f16_e32 v204, v166, v168
	v_add_f16_e32 v193, v165, v184
	v_sub_f16_e32 v165, v165, v184
	v_fmamk_f16 v184, v186, 0xbaee, v170
	v_lshrrev_b32_e32 v206, 16, v164
	v_fmamk_f16 v212, v73, 0x3aee, v76
	v_add_f16_e32 v213, v156, v208
	v_fmac_f16_e32 v76, 0xbaee, v73
	v_fmac_f16_e32 v170, 0x3aee, v186
	v_fma_f16 v204, -0.5, v204, v164
	v_add_f16_e32 v164, v164, v166
	v_add_f16_e32 v215, v206, v156
	v_fmac_f16_e32 v206, -0.5, v213
	v_sub_f16_e32 v156, v156, v208
	v_sub_f16_e32 v166, v166, v168
	v_mul_f16_e32 v73, -0.5, v200
	v_mul_f16_e32 v200, -0.5, v76
	;; [unrolled: 1-line block ×3, first 2 shown]
	v_mul_f16_e32 v214, 0x3aee, v184
	v_mul_f16_e32 v216, 0xbaee, v212
	v_fmamk_f16 v213, v155, 0xbaee, v191
	v_fmamk_f16 v217, v156, 0x3aee, v204
	;; [unrolled: 1-line block ×3, first 2 shown]
	v_fmac_f16_e32 v191, 0x3aee, v155
	v_fmac_f16_e32 v73, 0xbaee, v201
	;; [unrolled: 1-line block ×6, first 2 shown]
	v_fmac_f16_e32 v214, 0.5, v212
	v_fmac_f16_e32 v216, 0.5, v184
	v_add_f16_e32 v156, v191, v73
	v_add_f16_e32 v166, v204, v200
	v_add_f16_e32 v170, v206, v218
	v_add_f16_e32 v184, v158, v74
	v_add_f16_e32 v212, v213, v197
	v_add_f16_e32 v76, v217, v214
	v_add_f16_e32 v155, v186, v216
	v_pack_b32_f16 v192, v192, v156
	v_pack_b32_f16 v166, v166, v170
	v_sub_f16_e32 v74, v158, v74
	v_sub_f16_e32 v156, v213, v197
	;; [unrolled: 1-line block ×7, first 2 shown]
	v_pack_b32_f16 v162, v162, v194
	v_pack_b32_f16 v184, v184, v212
	;; [unrolled: 1-line block ×3, first 2 shown]
	v_add_nc_u32_e32 v155, 0x1400, v118
	v_pack_b32_f16 v74, v74, v156
	v_pack_b32_f16 v158, v158, v170
	v_add_nc_u32_e32 v156, 0x2600, v118
	v_pack_b32_f16 v72, v72, v73
	v_pack_b32_f16 v73, v186, v191
	ds_write_b32 v118, v162 offset:7680
	ds_write2_b32 v121, v184, v76 offset0:80 offset1:200
	ds_write2_b32 v155, v192, v166 offset0:40 offset1:160
	;; [unrolled: 1-line block ×4, first 2 shown]
	v_add_f16_e32 v72, v164, v168
	v_add_f16_e32 v73, v215, v208
	;; [unrolled: 1-line block ×12, first 2 shown]
	v_fmac_f16_e32 v196, -0.5, v158
	v_sub_f16_e32 v158, v185, v202
	v_mul_f16_e32 v161, -0.5, v161
	v_pack_b32_f16 v163, v163, v166
	v_add_f16_e32 v166, v164, v75
	v_sub_f16_e32 v72, v72, v74
	v_sub_f16_e32 v73, v73, v76
	;; [unrolled: 1-line block ×4, first 2 shown]
	v_fmamk_f16 v168, v158, 0xbaee, v196
	v_fmac_f16_e32 v196, 0x3aee, v158
	v_fmac_f16_e32 v161, 0xbaee, v190
	v_add_f16_e32 v158, v167, v162
	v_mul_f16_e32 v164, 0x3aee, v195
	v_pack_b32_f16 v72, v72, v73
	v_pack_b32_f16 v73, v76, v75
	v_mul_f16_e32 v75, 0xbaee, v199
	v_add_f16_e32 v74, v196, v161
	v_pack_b32_f16 v162, v158, v166
	v_fmac_f16_e32 v164, 0.5, v199
	v_add_nc_u32_e32 v158, 0x1e00, v118
	v_fmac_f16_e32 v75, 0.5, v195
	v_pack_b32_f16 v74, v193, v74
	v_add_f16_e32 v76, v171, v172
	ds_write2_b32 v123, v163, v162 offset0:112 offset1:232
	ds_write_b32 v118, v74 offset:6240
	ds_write2_b32 v158, v72, v73 offset0:120 offset1:240
	v_sub_f16_e32 v73, v205, v164
	v_add_f16_e32 v162, v168, v75
	v_sub_f16_e32 v75, v168, v75
	v_add_f16_e32 v72, v205, v164
	v_add_f16_e32 v74, v70, v171
	v_fmac_f16_e32 v70, -0.5, v76
	v_mul_f16_e32 v163, 0x3aee, v182
	v_mul_f16_e32 v164, 0xbaee, v181
	v_sub_f16_e32 v166, v173, v174
	v_pack_b32_f16 v73, v73, v75
	v_mul_f16_e32 v75, -0.5, v177
	v_sub_f16_e32 v161, v196, v161
	v_add_f16_e32 v74, v74, v172
	v_add_f16_e32 v76, v179, v174
	;; [unrolled: 1-line block ×4, first 2 shown]
	v_fmac_f16_e32 v163, 0.5, v181
	v_fmac_f16_e32 v164, 0.5, v182
	v_fmamk_f16 v169, v166, 0xbaee, v70
	v_fmac_f16_e32 v70, 0x3aee, v166
	v_fmac_f16_e32 v75, 0xbaee, v71
	v_pack_b32_f16 v161, v165, v161
	v_pack_b32_f16 v72, v72, v162
	v_add_f16_e32 v162, v76, v167
	v_add_f16_e32 v170, v74, v168
	;; [unrolled: 1-line block ×4, first 2 shown]
	v_sub_f16_e32 v71, v76, v167
	v_add_f16_e32 v76, v70, v75
	v_sub_f16_e32 v74, v74, v168
	ds_write_b32 v118, v73 offset:11040
	ds_write_b32 v118, v161 offset:13440
	v_sub_f16_e32 v73, v183, v163
	v_sub_f16_e32 v161, v169, v164
	;; [unrolled: 1-line block ×3, first 2 shown]
	v_pack_b32_f16 v162, v162, v170
	v_pack_b32_f16 v165, v171, v172
	;; [unrolled: 1-line block ×6, first 2 shown]
	ds_write_b32 v118, v162 offset:1920
	ds_write2_b32 v122, v72, v165 offset0:64 offset1:184
	ds_write_b32 v118, v75 offset:6720
	ds_write_b32 v118, v71 offset:9120
	;; [unrolled: 1-line block ×4, first 2 shown]
	s_waitcnt lgkmcnt(0)
	s_barrier
	buffer_gl0_inv
	s_clause 0x2
	global_load_dword v76, v118, s[6:7]
	global_load_dword v165, v118, s[6:7] offset:1440
	global_load_dword v167, v118, s[6:7] offset:1920
	v_add_co_u32 v163, s0, s6, v118
	v_add_co_ci_u32_e64 v164, null, s7, 0, s0
	v_add_nc_u32_e32 v197, 0x400, v118
	v_add_co_u32 v70, vcc_lo, 0x1000, v163
	v_add_co_ci_u32_e32 v71, vcc_lo, 0, v164, vcc_lo
	s_clause 0x1
	global_load_dword v169, v[70:71], off offset:224
	global_load_dword v170, v[70:71], off offset:704
	v_add_co_u32 v72, vcc_lo, 0x3000, v163
	v_add_co_ci_u32_e32 v73, vcc_lo, 0, v164, vcc_lo
	s_clause 0x1
	global_load_dword v171, v[72:73], off offset:672
	global_load_dword v172, v[72:73], off offset:1152
	;; [unrolled: 5-line block ×3, first 2 shown]
	global_load_dword v175, v[74:75], off offset:1312
	global_load_dword v176, v[70:71], off offset:1184
	;; [unrolled: 1-line block ×3, first 2 shown]
	v_add_co_u32 v74, vcc_lo, 0x1800, v163
	v_add_co_ci_u32_e32 v75, vcc_lo, 0, v164, vcc_lo
	s_clause 0x1
	global_load_dword v178, v[74:75], off offset:96
	global_load_dword v179, v[74:75], off offset:576
	v_add_co_u32 v161, vcc_lo, 0x2000, v163
	v_add_co_ci_u32_e32 v162, vcc_lo, 0, v164, vcc_lo
	s_clause 0x1
	global_load_dword v180, v[161:162], off offset:928
	global_load_dword v181, v[161:162], off offset:1408
	v_add_co_u32 v163, vcc_lo, 0x2800, v163
	v_add_co_ci_u32_e32 v164, vcc_lo, 0, v164, vcc_lo
	s_clause 0xd
	global_load_dword v182, v[163:164], off offset:1280
	global_load_dword v183, v[163:164], off offset:800
	global_load_dword v184, v[163:164], off offset:1760
	global_load_dword v185, v[72:73], off offset:1632
	;; [unrolled: 1-line block ×8, first 2 shown]
	global_load_dword v65, v65, s[6:7]
	global_load_dword v192, v118, s[6:7] offset:480
	global_load_dword v193, v118, s[6:7] offset:960
	global_load_dword v194, v[74:75], off offset:2016
	ds_read2_b32 v[70:71], v118 offset1:120
	s_waitcnt lgkmcnt(0)
	v_lshrrev_b32_e32 v72, 16, v70
	s_waitcnt vmcnt(29)
	v_mul_f16_sdwa v73, v70, v76 dst_sel:DWORD dst_unused:UNUSED_PAD src0_sel:DWORD src1_sel:WORD_1
	v_mul_f16_sdwa v74, v72, v76 dst_sel:DWORD dst_unused:UNUSED_PAD src0_sel:DWORD src1_sel:WORD_1
	v_fmac_f16_e32 v73, v72, v76
	v_fma_f16 v70, v70, v76, -v74
	v_pack_b32_f16 v70, v70, v73
	ds_write_b32 v118, v70
	ds_read2_b32 v[72:73], v123 offset0:112 offset1:232
	ds_read2_b32 v[74:75], v102 offset0:96 offset1:216
	;; [unrolled: 1-line block ×4, first 2 shown]
	s_waitcnt lgkmcnt(3)
	v_lshrrev_b32_e32 v70, 16, v73
	s_waitcnt lgkmcnt(2)
	v_lshrrev_b32_e32 v76, 16, v74
	s_waitcnt vmcnt(28)
	v_mul_f16_sdwa v168, v73, v165 dst_sel:DWORD dst_unused:UNUSED_PAD src0_sel:DWORD src1_sel:WORD_1
	s_waitcnt vmcnt(27)
	v_mul_f16_sdwa v195, v74, v167 dst_sel:DWORD dst_unused:UNUSED_PAD src0_sel:DWORD src1_sel:WORD_1
	s_waitcnt vmcnt(26) lgkmcnt(1)
	v_mul_f16_sdwa v198, v162, v169 dst_sel:DWORD dst_unused:UNUSED_PAD src0_sel:DWORD src1_sel:WORD_1
	v_mul_f16_sdwa v166, v70, v165 dst_sel:DWORD dst_unused:UNUSED_PAD src0_sel:DWORD src1_sel:WORD_1
	;; [unrolled: 1-line block ×3, first 2 shown]
	v_fmac_f16_e32 v168, v70, v165
	v_fmac_f16_e32 v195, v76, v167
	s_waitcnt vmcnt(25) lgkmcnt(0)
	v_mul_f16_sdwa v200, v163, v170 dst_sel:DWORD dst_unused:UNUSED_PAD src0_sel:DWORD src1_sel:WORD_1
	v_fma_f16 v70, v73, v165, -v166
	ds_read2_b32 v[165:166], v112 offset0:48 offset1:168
	v_fma_f16 v76, v74, v167, -v196
	ds_read2_b32 v[73:74], v90 offset0:32 offset1:152
	v_lshrrev_b32_e32 v196, 16, v162
	v_pack_b32_f16 v70, v70, v168
	ds_read2_b32 v[167:168], v121 offset0:80 offset1:200
	v_pack_b32_f16 v76, v76, v195
	v_lshrrev_b32_e32 v195, 16, v163
	v_mul_f16_sdwa v199, v196, v169 dst_sel:DWORD dst_unused:UNUSED_PAD src0_sel:DWORD src1_sel:WORD_1
	v_fmac_f16_e32 v198, v196, v169
	ds_write2_b32 v197, v70, v76 offset0:104 offset1:224
	v_mul_f16_sdwa v201, v195, v170 dst_sel:DWORD dst_unused:UNUSED_PAD src0_sel:DWORD src1_sel:WORD_1
	v_fma_f16 v162, v162, v169, -v199
	v_fmac_f16_e32 v200, v195, v170
	v_add_nc_u32_e32 v197, 0x1000, v118
	v_fma_f16 v163, v163, v170, -v201
	v_pack_b32_f16 v76, v162, v198
	s_waitcnt lgkmcnt(3)
	v_lshrrev_b32_e32 v70, 16, v166
	s_waitcnt vmcnt(24)
	v_mul_f16_sdwa v169, v166, v171 dst_sel:DWORD dst_unused:UNUSED_PAD src0_sel:DWORD src1_sel:WORD_1
	v_pack_b32_f16 v163, v163, v200
	s_waitcnt lgkmcnt(2)
	v_lshrrev_b32_e32 v162, 16, v73
	s_waitcnt vmcnt(23)
	v_mul_f16_sdwa v195, v73, v172 dst_sel:DWORD dst_unused:UNUSED_PAD src0_sel:DWORD src1_sel:WORD_1
	v_mul_f16_sdwa v170, v70, v171 dst_sel:DWORD dst_unused:UNUSED_PAD src0_sel:DWORD src1_sel:WORD_1
	v_fmac_f16_e32 v169, v70, v171
	ds_write2_b32 v197, v76, v163 offset0:56 offset1:176
	s_waitcnt lgkmcnt(2)
	v_lshrrev_b32_e32 v76, 16, v167
	v_mul_f16_sdwa v196, v162, v172 dst_sel:DWORD dst_unused:UNUSED_PAD src0_sel:DWORD src1_sel:WORD_1
	v_fma_f16 v70, v166, v171, -v170
	v_fmac_f16_e32 v195, v162, v172
	v_lshrrev_b32_e32 v166, 16, v75
	s_waitcnt vmcnt(22)
	v_mul_f16_sdwa v162, v76, v173 dst_sel:DWORD dst_unused:UNUSED_PAD src0_sel:DWORD src1_sel:WORD_1
	v_fma_f16 v73, v73, v172, -v196
	v_pack_b32_f16 v70, v70, v169
	v_mul_f16_sdwa v169, v167, v173 dst_sel:DWORD dst_unused:UNUSED_PAD src0_sel:DWORD src1_sel:WORD_1
	s_waitcnt vmcnt(21)
	v_mul_f16_sdwa v171, v166, v174 dst_sel:DWORD dst_unused:UNUSED_PAD src0_sel:DWORD src1_sel:WORD_1
	v_mul_f16_sdwa v172, v75, v174 dst_sel:DWORD dst_unused:UNUSED_PAD src0_sel:DWORD src1_sel:WORD_1
	v_pack_b32_f16 v73, v73, v195
	v_add_nc_u32_e32 v170, 0x3200, v118
	v_fmac_f16_e32 v169, v76, v173
	v_fma_f16 v76, v167, v173, -v162
	ds_read2_b32 v[162:163], v117 offset0:32 offset1:152
	v_fma_f16 v167, v75, v174, -v171
	v_fmac_f16_e32 v172, v166, v174
	ds_write2_b32 v170, v70, v73 offset0:40 offset1:160
	v_pack_b32_f16 v70, v76, v169
	ds_read2_b32 v[75:76], v116 offset0:16 offset1:136
	v_lshrrev_b32_e32 v73, 16, v168
	v_pack_b32_f16 v171, v167, v172
	v_lshrrev_b32_e32 v172, 16, v161
	s_waitcnt vmcnt(20)
	v_mul_f16_sdwa v195, v168, v175 dst_sel:DWORD dst_unused:UNUSED_PAD src0_sel:DWORD src1_sel:WORD_1
	ds_read2_b32 v[166:167], v111 offset0:112 offset1:232
	ds_read2_b32 v[169:170], v110 offset0:96 offset1:216
	v_add_nc_u32_e32 v173, 0x800, v118
	s_waitcnt vmcnt(18)
	v_mul_f16_sdwa v196, v172, v177 dst_sel:DWORD dst_unused:UNUSED_PAD src0_sel:DWORD src1_sel:WORD_1
	v_mul_f16_sdwa v174, v73, v175 dst_sel:DWORD dst_unused:UNUSED_PAD src0_sel:DWORD src1_sel:WORD_1
	;; [unrolled: 1-line block ×3, first 2 shown]
	v_fmac_f16_e32 v195, v73, v175
	ds_write2_b32 v173, v171, v70 offset0:88 offset1:208
	v_fma_f16 v73, v161, v177, -v196
	v_fma_f16 v168, v168, v175, -v174
	s_waitcnt lgkmcnt(5)
	v_lshrrev_b32_e32 v161, 16, v163
	v_fmac_f16_e32 v197, v172, v177
	s_waitcnt vmcnt(17)
	v_mul_f16_sdwa v70, v163, v178 dst_sel:DWORD dst_unused:UNUSED_PAD src0_sel:DWORD src1_sel:WORD_1
	ds_read2_b32 v[171:172], v107 offset0:64 offset1:184
	v_pack_b32_f16 v168, v168, v195
	v_mul_f16_sdwa v173, v161, v178 dst_sel:DWORD dst_unused:UNUSED_PAD src0_sel:DWORD src1_sel:WORD_1
	s_waitcnt lgkmcnt(4)
	v_lshrrev_b32_e32 v175, 16, v75
	v_fmac_f16_e32 v70, v161, v178
	s_waitcnt vmcnt(16)
	v_mul_f16_sdwa v161, v75, v179 dst_sel:DWORD dst_unused:UNUSED_PAD src0_sel:DWORD src1_sel:WORD_1
	v_pack_b32_f16 v73, v73, v197
	v_fma_f16 v163, v163, v178, -v173
	ds_read2_b32 v[173:174], v94 offset0:80 offset1:200
	v_mul_f16_sdwa v177, v175, v179 dst_sel:DWORD dst_unused:UNUSED_PAD src0_sel:DWORD src1_sel:WORD_1
	s_waitcnt lgkmcnt(4)
	v_lshrrev_b32_e32 v178, 16, v167
	v_fmac_f16_e32 v161, v175, v179
	s_waitcnt lgkmcnt(3)
	v_lshrrev_b32_e32 v175, 16, v169
	s_waitcnt vmcnt(14)
	v_mul_f16_sdwa v195, v169, v181 dst_sel:DWORD dst_unused:UNUSED_PAD src0_sel:DWORD src1_sel:WORD_1
	v_fma_f16 v75, v75, v179, -v177
	v_mul_f16_sdwa v177, v167, v180 dst_sel:DWORD dst_unused:UNUSED_PAD src0_sel:DWORD src1_sel:WORD_1
	v_mul_f16_sdwa v179, v178, v180 dst_sel:DWORD dst_unused:UNUSED_PAD src0_sel:DWORD src1_sel:WORD_1
	;; [unrolled: 1-line block ×3, first 2 shown]
	v_pack_b32_f16 v70, v163, v70
	v_fmac_f16_e32 v195, v175, v181
	v_fmac_f16_e32 v177, v178, v180
	v_fma_f16 v163, v167, v180, -v179
	v_fma_f16 v167, v169, v181, -v196
	v_pack_b32_f16 v75, v75, v161
	ds_write2_b32 v69, v168, v73 offset0:72 offset1:192
	s_waitcnt lgkmcnt(2)
	v_lshrrev_b32_e32 v73, 16, v171
	v_pack_b32_f16 v69, v163, v177
	v_pack_b32_f16 v161, v167, v195
	ds_write2_b32 v68, v70, v75 offset0:24 offset1:144
	s_waitcnt vmcnt(13)
	v_mul_f16_sdwa v68, v171, v182 dst_sel:DWORD dst_unused:UNUSED_PAD src0_sel:DWORD src1_sel:WORD_1
	s_waitcnt lgkmcnt(2)
	v_lshrrev_b32_e32 v70, 16, v174
	v_mul_f16_sdwa v75, v73, v182 dst_sel:DWORD dst_unused:UNUSED_PAD src0_sel:DWORD src1_sel:WORD_1
	ds_write2_b32 v67, v69, v161 offset0:104 offset1:224
	s_waitcnt vmcnt(12)
	v_mul_f16_sdwa v67, v174, v183 dst_sel:DWORD dst_unused:UNUSED_PAD src0_sel:DWORD src1_sel:WORD_1
	v_fmac_f16_e32 v68, v73, v182
	v_mul_f16_sdwa v69, v70, v183 dst_sel:DWORD dst_unused:UNUSED_PAD src0_sel:DWORD src1_sel:WORD_1
	v_fma_f16 v73, v171, v182, -v75
	v_lshrrev_b32_e32 v75, 16, v172
	v_fmac_f16_e32 v67, v70, v183
	s_waitcnt vmcnt(11)
	v_mul_f16_sdwa v161, v172, v184 dst_sel:DWORD dst_unused:UNUSED_PAD src0_sel:DWORD src1_sel:WORD_1
	v_fma_f16 v69, v174, v183, -v69
	v_pack_b32_f16 v73, v73, v68
	v_mul_f16_sdwa v68, v75, v184 dst_sel:DWORD dst_unused:UNUSED_PAD src0_sel:DWORD src1_sel:WORD_1
	v_lshrrev_b32_e32 v70, 16, v165
	v_fmac_f16_e32 v161, v75, v184
	v_pack_b32_f16 v69, v69, v67
	s_waitcnt vmcnt(9)
	v_mul_f16_sdwa v167, v165, v186 dst_sel:DWORD dst_unused:UNUSED_PAD src0_sel:DWORD src1_sel:WORD_1
	v_fma_f16 v67, v172, v184, -v68
	v_mul_f16_sdwa v163, v70, v186 dst_sel:DWORD dst_unused:UNUSED_PAD src0_sel:DWORD src1_sel:WORD_1
	v_fmac_f16_e32 v167, v70, v186
	v_pack_b32_f16 v161, v67, v161
	ds_read2_b32 v[67:68], v96 offset0:128 offset1:248
	v_fma_f16 v75, v165, v186, -v163
	v_add_nc_u32_e32 v70, 0x2a00, v118
	v_lshrrev_b32_e32 v163, 16, v162
	s_waitcnt vmcnt(4)
	v_mul_f16_sdwa v165, v166, v191 dst_sel:DWORD dst_unused:UNUSED_PAD src0_sel:DWORD src1_sel:WORD_1
	v_pack_b32_f16 v75, v75, v167
	ds_write2_b32 v70, v69, v73 offset0:72 offset1:192
	v_mul_f16_sdwa v69, v163, v187 dst_sel:DWORD dst_unused:UNUSED_PAD src0_sel:DWORD src1_sel:WORD_1
	v_mul_f16_sdwa v70, v162, v187 dst_sel:DWORD dst_unused:UNUSED_PAD src0_sel:DWORD src1_sel:WORD_1
	v_lshrrev_b32_e32 v73, 16, v76
	ds_write2_b32 v66, v161, v75 offset0:56 offset1:176
	v_lshrrev_b32_e32 v66, 16, v166
	v_fma_f16 v69, v162, v187, -v69
	v_mul_f16_sdwa v161, v76, v189 dst_sel:DWORD dst_unused:UNUSED_PAD src0_sel:DWORD src1_sel:WORD_1
	v_fmac_f16_e32 v70, v163, v187
	v_mul_f16_sdwa v75, v73, v189 dst_sel:DWORD dst_unused:UNUSED_PAD src0_sel:DWORD src1_sel:WORD_1
	v_mul_f16_sdwa v162, v66, v191 dst_sel:DWORD dst_unused:UNUSED_PAD src0_sel:DWORD src1_sel:WORD_1
	v_fmac_f16_e32 v165, v66, v191
	v_lshrrev_b32_e32 v163, 16, v170
	s_waitcnt lgkmcnt(2)
	v_lshrrev_b32_e32 v66, 16, v67
	v_fmac_f16_e32 v161, v73, v189
	v_fma_f16 v73, v166, v191, -v162
	v_lshrrev_b32_e32 v162, 16, v71
	v_mul_f16_sdwa v166, v170, v188 dst_sel:DWORD dst_unused:UNUSED_PAD src0_sel:DWORD src1_sel:WORD_1
	s_waitcnt vmcnt(3)
	v_mul_f16_sdwa v167, v67, v65 dst_sel:DWORD dst_unused:UNUSED_PAD src0_sel:DWORD src1_sel:WORD_1
	v_mul_f16_sdwa v168, v66, v65 dst_sel:DWORD dst_unused:UNUSED_PAD src0_sel:DWORD src1_sel:WORD_1
	v_fma_f16 v75, v76, v189, -v75
	v_mul_f16_sdwa v76, v163, v188 dst_sel:DWORD dst_unused:UNUSED_PAD src0_sel:DWORD src1_sel:WORD_1
	s_waitcnt vmcnt(2)
	v_mul_f16_sdwa v169, v162, v192 dst_sel:DWORD dst_unused:UNUSED_PAD src0_sel:DWORD src1_sel:WORD_1
	v_fmac_f16_e32 v166, v163, v188
	v_lshrrev_b32_e32 v163, 16, v173
	v_fmac_f16_e32 v167, v66, v65
	v_fma_f16 v65, v67, v65, -v168
	v_mul_f16_sdwa v67, v71, v192 dst_sel:DWORD dst_unused:UNUSED_PAD src0_sel:DWORD src1_sel:WORD_1
	v_fma_f16 v66, v71, v192, -v169
	v_mul_f16_sdwa v71, v163, v190 dst_sel:DWORD dst_unused:UNUSED_PAD src0_sel:DWORD src1_sel:WORD_1
	v_pack_b32_f16 v75, v75, v161
	v_mul_f16_sdwa v161, v173, v190 dst_sel:DWORD dst_unused:UNUSED_PAD src0_sel:DWORD src1_sel:WORD_1
	v_pack_b32_f16 v65, v65, v167
	v_fmac_f16_e32 v67, v162, v192
	v_lshrrev_b32_e32 v162, 16, v72
	v_fma_f16 v71, v173, v190, -v71
	v_fmac_f16_e32 v161, v163, v190
	ds_write2_b32 v96, v75, v65 offset0:8 offset1:128
	v_lshrrev_b32_e32 v65, 16, v164
	s_waitcnt vmcnt(1)
	v_mul_f16_sdwa v75, v162, v193 dst_sel:DWORD dst_unused:UNUSED_PAD src0_sel:DWORD src1_sel:WORD_1
	v_mul_f16_sdwa v163, v72, v193 dst_sel:DWORD dst_unused:UNUSED_PAD src0_sel:DWORD src1_sel:WORD_1
	v_pack_b32_f16 v71, v71, v161
	v_fma_f16 v76, v170, v188, -v76
	v_mul_f16_sdwa v161, v65, v176 dst_sel:DWORD dst_unused:UNUSED_PAD src0_sel:DWORD src1_sel:WORD_1
	v_fma_f16 v72, v72, v193, -v75
	v_mul_f16_sdwa v75, v164, v176 dst_sel:DWORD dst_unused:UNUSED_PAD src0_sel:DWORD src1_sel:WORD_1
	v_fmac_f16_e32 v163, v162, v193
	v_lshrrev_b32_e32 v162, 16, v68
	v_fma_f16 v161, v164, v176, -v161
	v_lshrrev_b32_e32 v164, 16, v74
	v_fmac_f16_e32 v75, v65, v176
	v_pack_b32_f16 v65, v66, v67
	s_waitcnt vmcnt(0)
	v_mul_f16_sdwa v66, v162, v194 dst_sel:DWORD dst_unused:UNUSED_PAD src0_sel:DWORD src1_sel:WORD_1
	v_mul_f16_sdwa v67, v68, v194 dst_sel:DWORD dst_unused:UNUSED_PAD src0_sel:DWORD src1_sel:WORD_1
	v_pack_b32_f16 v76, v76, v166
	v_mul_f16_sdwa v166, v164, v185 dst_sel:DWORD dst_unused:UNUSED_PAD src0_sel:DWORD src1_sel:WORD_1
	v_mul_f16_sdwa v167, v74, v185 dst_sel:DWORD dst_unused:UNUSED_PAD src0_sel:DWORD src1_sel:WORD_1
	v_fma_f16 v66, v68, v194, -v66
	v_fmac_f16_e32 v67, v162, v194
	v_pack_b32_f16 v72, v72, v163
	v_fma_f16 v68, v74, v185, -v166
	v_fmac_f16_e32 v167, v164, v185
	v_pack_b32_f16 v69, v69, v70
	v_pack_b32_f16 v70, v161, v75
	;; [unrolled: 1-line block ×5, first 2 shown]
	ds_write2_b32 v156, v76, v71 offset0:88 offset1:208
	ds_write2_b32 v118, v65, v72 offset0:120 offset1:240
	;; [unrolled: 1-line block ×4, first 2 shown]
	ds_write_b32 v118, v67 offset:13920
	s_waitcnt lgkmcnt(0)
	s_barrier
	buffer_gl0_inv
	ds_read2_b32 v[65:66], v107 offset0:64 offset1:184
	ds_read2_b32 v[161:162], v121 offset0:80 offset1:200
	;; [unrolled: 1-line block ×4, first 2 shown]
	ds_read2_b32 v[167:168], v118 offset1:120
	s_waitcnt lgkmcnt(3)
	v_add_f16_e32 v67, v161, v65
	s_waitcnt lgkmcnt(2)
	v_sub_f16_e32 v68, v163, v65
	s_waitcnt lgkmcnt(1)
	v_sub_f16_e32 v69, v165, v161
	v_sub_f16_sdwa v183, v165, v163 dst_sel:DWORD dst_unused:UNUSED_PAD src0_sel:WORD_1 src1_sel:WORD_1
	v_add_f16_sdwa v169, v165, v163 dst_sel:DWORD dst_unused:UNUSED_PAD src0_sel:WORD_1 src1_sel:WORD_1
	s_waitcnt lgkmcnt(0)
	v_fma_f16 v187, -0.5, v67, v167
	v_lshrrev_b32_e32 v188, 16, v167
	v_add_f16_e32 v171, v69, v68
	ds_read2_b32 v[69:70], v110 offset0:96 offset1:216
	ds_read2_b32 v[71:72], v112 offset0:48 offset1:168
	;; [unrolled: 1-line block ×5, first 2 shown]
	v_add_f16_sdwa v170, v161, v65 dst_sel:DWORD dst_unused:UNUSED_PAD src0_sel:WORD_1 src1_sel:WORD_1
	v_fmamk_f16 v184, v183, 0x3b9c, v187
	v_sub_f16_sdwa v189, v161, v65 dst_sel:DWORD dst_unused:UNUSED_PAD src0_sel:WORD_1 src1_sel:WORD_1
	v_fmac_f16_e32 v187, 0xbb9c, v183
	v_fma_f16 v185, -0.5, v169, v188
	v_fmac_f16_e32 v188, -0.5, v170
	v_sub_f16_sdwa v169, v165, v161 dst_sel:DWORD dst_unused:UNUSED_PAD src0_sel:WORD_1 src1_sel:WORD_1
	v_sub_f16_sdwa v170, v163, v65 dst_sel:DWORD dst_unused:UNUSED_PAD src0_sel:WORD_1 src1_sel:WORD_1
	v_fmac_f16_e32 v184, 0xb8b4, v189
	v_fmac_f16_e32 v187, 0x38b4, v189
	v_sub_f16_e32 v186, v165, v163
	v_sub_f16_e32 v191, v161, v65
	v_add_f16_e32 v169, v169, v170
	v_fmac_f16_e32 v184, 0x34f2, v171
	v_fmac_f16_e32 v187, 0x34f2, v171
	v_fmamk_f16 v190, v186, 0xbb9c, v188
	v_fmac_f16_e32 v188, 0x3b9c, v186
	s_waitcnt lgkmcnt(2)
	v_add_f16_sdwa v170, v74, v70 dst_sel:DWORD dst_unused:UNUSED_PAD src0_sel:WORD_1 src1_sel:WORD_1
	s_waitcnt lgkmcnt(1)
	v_lshrrev_b32_e32 v171, 16, v68
	s_waitcnt lgkmcnt(0)
	v_add_f16_sdwa v172, v76, v72 dst_sel:DWORD dst_unused:UNUSED_PAD src0_sel:WORD_1 src1_sel:WORD_1
	v_add_f16_e32 v174, v76, v72
	v_sub_f16_e32 v193, v74, v70
	v_sub_f16_sdwa v194, v74, v70 dst_sel:DWORD dst_unused:UNUSED_PAD src0_sel:WORD_1 src1_sel:WORD_1
	v_fma_f16 v192, -0.5, v170, v171
	v_fmac_f16_e32 v171, -0.5, v172
	v_fma_f16 v170, -0.5, v174, v68
	v_fmac_f16_e32 v190, 0x38b4, v191
	v_fmac_f16_e32 v188, 0xb8b4, v191
	v_sub_f16_e32 v173, v70, v72
	v_sub_f16_e32 v175, v74, v76
	v_sub_f16_sdwa v172, v74, v76 dst_sel:DWORD dst_unused:UNUSED_PAD src0_sel:WORD_1 src1_sel:WORD_1
	v_sub_f16_sdwa v174, v70, v72 dst_sel:DWORD dst_unused:UNUSED_PAD src0_sel:WORD_1 src1_sel:WORD_1
	v_fmamk_f16 v176, v193, 0xbb9c, v171
	v_fmac_f16_e32 v171, 0x3b9c, v193
	v_sub_f16_e32 v195, v76, v72
	v_fmamk_f16 v177, v194, 0x3b9c, v170
	v_fmac_f16_e32 v170, 0xbb9c, v194
	v_sub_f16_sdwa v196, v76, v72 dst_sel:DWORD dst_unused:UNUSED_PAD src0_sel:WORD_1 src1_sel:WORD_1
	v_add_f16_e32 v172, v172, v174
	v_fmac_f16_e32 v171, 0xb8b4, v195
	v_add_f16_e32 v173, v175, v173
	v_fmac_f16_e32 v176, 0x38b4, v195
	v_fmac_f16_e32 v177, 0xb8b4, v196
	;; [unrolled: 1-line block ×5, first 2 shown]
	v_add_f16_e32 v169, v74, v70
	v_fmac_f16_e32 v171, 0x34f2, v172
	v_fmac_f16_e32 v176, 0x34f2, v172
	;; [unrolled: 1-line block ×4, first 2 shown]
	v_sub_f16_sdwa v172, v76, v74 dst_sel:DWORD dst_unused:UNUSED_PAD src0_sel:WORD_1 src1_sel:WORD_1
	v_sub_f16_sdwa v173, v72, v70 dst_sel:DWORD dst_unused:UNUSED_PAD src0_sel:WORD_1 src1_sel:WORD_1
	v_fma_f16 v201, -0.5, v169, v68
	v_sub_f16_e32 v174, v72, v70
	v_sub_f16_e32 v175, v76, v74
	v_fmamk_f16 v169, v195, 0x3b9c, v192
	v_add_f16_e32 v202, v172, v173
	v_fmamk_f16 v172, v196, 0xbb9c, v201
	v_mul_f16_e32 v199, 0xbb9c, v176
	v_add_f16_e32 v203, v175, v174
	v_add_f16_e32 v175, v165, v163
	v_mul_f16_e32 v200, 0x34f2, v176
	v_fmac_f16_e32 v169, 0x38b4, v193
	v_fmac_f16_e32 v172, 0xb8b4, v194
	;; [unrolled: 1-line block ×3, first 2 shown]
	v_fma_f16 v205, -0.5, v175, v167
	v_fmac_f16_e32 v200, 0x3b9c, v177
	v_sub_f16_e32 v173, v65, v163
	v_sub_f16_e32 v176, v161, v165
	v_fmac_f16_e32 v169, 0x34f2, v202
	v_sub_f16_sdwa v174, v161, v165 dst_sel:DWORD dst_unused:UNUSED_PAD src0_sel:WORD_1 src1_sel:WORD_1
	v_sub_f16_sdwa v177, v65, v163 dst_sel:DWORD dst_unused:UNUSED_PAD src0_sel:WORD_1 src1_sel:WORD_1
	v_fmac_f16_e32 v172, 0x34f2, v203
	v_pk_add_f16 v161, v167, v161
	v_fmamk_f16 v167, v189, 0xbb9c, v205
	v_fmamk_f16 v208, v191, 0x3b9c, v185
	v_mul_f16_e32 v204, 0xb8b4, v169
	v_add_f16_e32 v206, v176, v173
	v_add_f16_e32 v207, v174, v177
	v_pk_add_f16 v68, v68, v76
	v_mul_f16_e32 v76, 0x38b4, v172
	v_pk_add_f16 v161, v161, v165
	v_fmac_f16_e32 v167, 0xb8b4, v183
	v_fmac_f16_e32 v208, 0x38b4, v186
	;; [unrolled: 1-line block ×4, first 2 shown]
	v_pk_add_f16 v68, v68, v74
	v_fmac_f16_e32 v76, 0x3a79, v169
	v_pk_add_f16 v74, v161, v163
	v_fmac_f16_e32 v167, 0x34f2, v206
	v_fmac_f16_e32 v208, 0x34f2, v207
	;; [unrolled: 1-line block ×4, first 2 shown]
	v_mul_f16_e32 v197, 0xbb9c, v171
	v_mul_f16_e32 v198, 0xb4f2, v171
	v_pk_add_f16 v65, v74, v65
	v_add_f16_e32 v74, v167, v204
	v_add_f16_e32 v161, v208, v76
	v_fmac_f16_e32 v205, 0x3b9c, v189
	v_fmac_f16_e32 v185, 0xbb9c, v191
	;; [unrolled: 1-line block ×6, first 2 shown]
	v_pk_add_f16 v68, v68, v70
	v_pack_b32_f16 v172, v74, v161
	v_fmac_f16_e32 v205, 0x38b4, v183
	v_fmac_f16_e32 v185, 0xb8b4, v186
	;; [unrolled: 1-line block ×3, first 2 shown]
	v_mul_f16_e32 v161, 0xb8b4, v192
	v_mul_f16_e32 v163, 0xba79, v192
	v_add_f16_e32 v170, v187, v197
	v_add_f16_e32 v171, v188, v198
	v_add_f16_e32 v178, v184, v199
	v_add_f16_e32 v70, v190, v200
	v_pk_add_f16 v68, v68, v72
	v_sub_f16_e32 v72, v184, v199
	v_sub_f16_e32 v74, v190, v200
	v_fmac_f16_e32 v205, 0x34f2, v206
	v_fmac_f16_e32 v185, 0x34f2, v207
	;; [unrolled: 1-line block ×4, first 2 shown]
	v_pack_b32_f16 v170, v170, v171
	v_pack_b32_f16 v169, v178, v70
	v_pk_add_f16 v171, v65, v68
	ds_read2_b32 v[173:174], v102 offset0:96 offset1:216
	ds_read2_b32 v[175:176], v99 offset0:48 offset1:168
	;; [unrolled: 1-line block ×5, first 2 shown]
	v_sub_f16_e32 v70, v167, v204
	v_sub_f16_e32 v76, v208, v76
	v_pack_b32_f16 v184, v72, v74
	v_pk_add_f16 v186, v65, v68 neg_lo:[0,1] neg_hi:[0,1]
	v_sub_f16_e32 v65, v205, v161
	v_sub_f16_e32 v68, v185, v163
	v_pk_add_f16 v74, v168, v162
	v_add_f16_e32 v189, v162, v66
	v_pack_b32_f16 v183, v70, v76
	v_add_f16_e32 v70, v205, v161
	v_add_f16_e32 v72, v185, v163
	v_pack_b32_f16 v163, v65, v68
	v_pk_add_f16 v65, v74, v166
	v_sub_f16_sdwa v74, v166, v164 dst_sel:DWORD dst_unused:UNUSED_PAD src0_sel:WORD_1 src1_sel:WORD_1
	v_fma_f16 v189, -0.5, v189, v168
	v_pack_b32_f16 v185, v70, v72
	v_sub_f16_e32 v72, v188, v198
	v_sub_f16_e32 v161, v166, v162
	v_sub_f16_sdwa v188, v162, v66 dst_sel:DWORD dst_unused:UNUSED_PAD src0_sel:WORD_1 src1_sel:WORD_1
	v_pk_add_f16 v65, v65, v164
	v_sub_f16_e32 v192, v164, v66
	v_fmamk_f16 v196, v74, 0x3b9c, v189
	v_fmac_f16_e32 v189, 0xbb9c, v74
	v_sub_f16_e32 v70, v187, v197
	v_add_f16_e32 v68, v166, v164
	v_sub_f16_e32 v76, v162, v166
	v_add_f16_sdwa v165, v166, v164 dst_sel:DWORD dst_unused:UNUSED_PAD src0_sel:WORD_1 src1_sel:WORD_1
	v_sub_f16_e32 v167, v166, v164
	v_sub_f16_sdwa v187, v162, v166 dst_sel:DWORD dst_unused:UNUSED_PAD src0_sel:WORD_1 src1_sel:WORD_1
	v_sub_f16_sdwa v166, v166, v162 dst_sel:DWORD dst_unused:UNUSED_PAD src0_sel:WORD_1 src1_sel:WORD_1
	v_sub_f16_e32 v190, v162, v66
	v_add_f16_sdwa v162, v162, v66 dst_sel:DWORD dst_unused:UNUSED_PAD src0_sel:WORD_1 src1_sel:WORD_1
	v_sub_f16_e32 v191, v66, v164
	v_sub_f16_sdwa v193, v66, v164 dst_sel:DWORD dst_unused:UNUSED_PAD src0_sel:WORD_1 src1_sel:WORD_1
	v_lshrrev_b32_e32 v194, 16, v168
	v_sub_f16_sdwa v164, v164, v66 dst_sel:DWORD dst_unused:UNUSED_PAD src0_sel:WORD_1 src1_sel:WORD_1
	v_pk_add_f16 v195, v65, v66
	v_add_f16_e32 v65, v161, v192
	v_fmac_f16_e32 v196, 0xb8b4, v188
	v_fmac_f16_e32 v189, 0x38b4, v188
	v_fma_f16 v197, -0.5, v165, v194
	v_fmac_f16_e32 v194, -0.5, v162
	s_waitcnt lgkmcnt(1)
	v_add_f16_sdwa v66, v177, v179 dst_sel:DWORD dst_unused:UNUSED_PAD src0_sel:WORD_1 src1_sel:WORD_1
	v_fmac_f16_e32 v196, 0x34f2, v65
	v_fmac_f16_e32 v189, 0x34f2, v65
	v_add_f16_e32 v65, v166, v164
	v_lshrrev_b32_e32 v162, 16, v173
	s_waitcnt lgkmcnt(0)
	v_add_f16_sdwa v164, v175, v181 dst_sel:DWORD dst_unused:UNUSED_PAD src0_sel:WORD_1 src1_sel:WORD_1
	v_add_f16_e32 v166, v175, v181
	v_sub_f16_e32 v198, v177, v179
	v_sub_f16_sdwa v199, v179, v181 dst_sel:DWORD dst_unused:UNUSED_PAD src0_sel:WORD_1 src1_sel:WORD_1
	v_fma_f16 v192, -0.5, v66, v162
	v_fmac_f16_e32 v162, -0.5, v164
	v_fma_f16 v66, -0.5, v166, v173
	v_sub_f16_sdwa v166, v177, v179 dst_sel:DWORD dst_unused:UNUSED_PAD src0_sel:WORD_1 src1_sel:WORD_1
	v_sub_f16_sdwa v164, v177, v175 dst_sel:DWORD dst_unused:UNUSED_PAD src0_sel:WORD_1 src1_sel:WORD_1
	v_sub_f16_e32 v201, v175, v181
	v_fmamk_f16 v200, v198, 0xbb9c, v162
	v_fma_f16 v68, -0.5, v68, v168
	v_fmamk_f16 v161, v167, 0xbb9c, v194
	v_fmac_f16_e32 v194, 0x3b9c, v167
	v_sub_f16_e32 v165, v179, v181
	v_sub_f16_e32 v168, v177, v175
	v_fmac_f16_e32 v162, 0x3b9c, v198
	v_fmamk_f16 v202, v166, 0x3b9c, v66
	v_sub_f16_sdwa v203, v175, v181 dst_sel:DWORD dst_unused:UNUSED_PAD src0_sel:WORD_1 src1_sel:WORD_1
	v_add_f16_e32 v164, v164, v199
	v_fmac_f16_e32 v200, 0x38b4, v201
	v_fmac_f16_e32 v161, 0x38b4, v190
	;; [unrolled: 1-line block ×5, first 2 shown]
	v_add_f16_e32 v165, v168, v165
	v_fmac_f16_e32 v202, 0xb8b4, v203
	v_fmac_f16_e32 v200, 0x34f2, v164
	;; [unrolled: 1-line block ×7, first 2 shown]
	v_mul_f16_e32 v204, 0xbb9c, v200
	v_mul_f16_e32 v200, 0x34f2, v200
	v_add_f16_e32 v65, v177, v179
	v_fmac_f16_e32 v66, 0x34f2, v165
	v_mul_f16_e32 v168, 0xbb9c, v162
	v_mul_f16_e32 v199, 0xb4f2, v162
	v_fmac_f16_e32 v204, 0x34f2, v202
	v_fmac_f16_e32 v200, 0x3b9c, v202
	v_fma_f16 v202, -0.5, v65, v173
	v_fmac_f16_e32 v168, 0xb4f2, v66
	v_fmac_f16_e32 v199, 0x3b9c, v66
	v_sub_f16_e32 v66, v181, v179
	v_sub_f16_e32 v65, v175, v177
	v_sub_f16_sdwa v162, v175, v177 dst_sel:DWORD dst_unused:UNUSED_PAD src0_sel:WORD_1 src1_sel:WORD_1
	v_sub_f16_sdwa v164, v181, v179 dst_sel:DWORD dst_unused:UNUSED_PAD src0_sel:WORD_1 src1_sel:WORD_1
	v_fmamk_f16 v165, v201, 0x3b9c, v192
	v_fmamk_f16 v205, v203, 0xbb9c, v202
	v_add_f16_e32 v207, v65, v66
	v_add_f16_e32 v76, v76, v191
	;; [unrolled: 1-line block ×3, first 2 shown]
	v_fmac_f16_e32 v165, 0x38b4, v198
	v_fmac_f16_e32 v205, 0xb8b4, v166
	v_add_f16_e32 v187, v187, v193
	v_fmamk_f16 v191, v188, 0xbb9c, v68
	v_fmamk_f16 v193, v190, 0x3b9c, v197
	v_fmac_f16_e32 v165, 0x34f2, v208
	v_fmac_f16_e32 v205, 0x34f2, v207
	v_pk_add_f16 v66, v173, v175
	v_fmac_f16_e32 v191, 0xb8b4, v74
	v_fmac_f16_e32 v193, 0x38b4, v167
	v_mul_f16_e32 v173, 0xb8b4, v165
	v_mul_f16_e32 v175, 0x38b4, v205
	v_pk_add_f16 v66, v66, v177
	v_fmac_f16_e32 v192, 0xbb9c, v201
	v_fmac_f16_e32 v191, 0x34f2, v76
	;; [unrolled: 1-line block ×5, first 2 shown]
	v_pk_add_f16 v66, v66, v179
	v_fmac_f16_e32 v202, 0x3b9c, v203
	v_fmac_f16_e32 v192, 0xb8b4, v198
	v_add_f16_e32 v206, v189, v168
	v_add_f16_e32 v65, v194, v199
	;; [unrolled: 1-line block ×6, first 2 shown]
	v_pk_add_f16 v181, v66, v181
	v_pack_b32_f16 v162, v70, v72
	v_fmac_f16_e32 v68, 0x3b9c, v188
	v_fmac_f16_e32 v202, 0x38b4, v166
	;; [unrolled: 1-line block ×4, first 2 shown]
	v_pack_b32_f16 v66, v206, v65
	v_pack_b32_f16 v65, v164, v165
	;; [unrolled: 1-line block ×3, first 2 shown]
	v_pk_add_f16 v164, v195, v181
	s_barrier
	buffer_gl0_inv
	ds_write2_b64 v135, v[171:172], v[169:170] offset1:1
	ds_write2_b64 v135, v[185:186], v[183:184] offset0:2 offset1:3
	ds_write_b64 v135, v[162:163] offset:32
	ds_write2_b64 v132, v[164:165], v[65:66] offset1:1
	v_fmac_f16_e32 v68, 0x38b4, v74
	v_fmac_f16_e32 v202, 0x34f2, v207
	v_mul_f16_e32 v74, 0xb8b4, v192
	v_fmac_f16_e32 v197, 0xb8b4, v167
	v_mul_f16_e32 v135, 0xba79, v192
	v_sub_f16_e32 v65, v191, v173
	v_sub_f16_e32 v72, v193, v175
	v_fmac_f16_e32 v68, 0x34f2, v76
	v_fmac_f16_e32 v74, 0xba79, v202
	;; [unrolled: 1-line block ×4, first 2 shown]
	v_pack_b32_f16 v65, v65, v72
	v_pk_add_f16 v165, v67, v75
	v_add_f16_e32 v72, v68, v74
	v_sub_f16_e32 v68, v68, v74
	v_sub_f16_e32 v76, v197, v135
	;; [unrolled: 1-line block ×4, first 2 shown]
	v_pk_add_f16 v171, v174, v176
	v_add_f16_e32 v74, v197, v135
	v_pack_b32_f16 v164, v68, v76
	v_pk_add_f16 v68, v165, v73
	v_pack_b32_f16 v66, v66, v70
	v_sub_f16_e32 v70, v189, v168
	v_add_f16_e32 v168, v75, v71
	v_sub_f16_e32 v135, v194, v199
	v_pk_add_f16 v68, v68, v69
	v_pack_b32_f16 v161, v72, v74
	v_sub_f16_sdwa v72, v73, v69 dst_sel:DWORD dst_unused:UNUSED_PAD src0_sel:WORD_1 src1_sel:WORD_1
	v_sub_f16_e32 v76, v73, v75
	v_sub_f16_e32 v172, v69, v71
	v_pk_add_f16 v175, v68, v71
	v_pk_add_f16 v68, v171, v178
	v_fma_f16 v168, -0.5, v168, v67
	v_pk_add_f16 v162, v195, v181 neg_lo:[0,1] neg_hi:[0,1]
	v_pack_b32_f16 v163, v70, v135
	v_add_f16_e32 v70, v73, v69
	v_pk_add_f16 v68, v68, v180
	v_sub_f16_e32 v74, v75, v73
	v_add_f16_sdwa v135, v73, v69 dst_sel:DWORD dst_unused:UNUSED_PAD src0_sel:WORD_1 src1_sel:WORD_1
	v_sub_f16_e32 v165, v73, v69
	v_sub_f16_sdwa v166, v75, v73 dst_sel:DWORD dst_unused:UNUSED_PAD src0_sel:WORD_1 src1_sel:WORD_1
	v_sub_f16_sdwa v73, v73, v75 dst_sel:DWORD dst_unused:UNUSED_PAD src0_sel:WORD_1 src1_sel:WORD_1
	;; [unrolled: 1-line block ×3, first 2 shown]
	v_sub_f16_e32 v169, v75, v71
	v_add_f16_sdwa v75, v75, v71 dst_sel:DWORD dst_unused:UNUSED_PAD src0_sel:WORD_1 src1_sel:WORD_1
	v_sub_f16_e32 v170, v71, v69
	v_sub_f16_sdwa v173, v71, v69 dst_sel:DWORD dst_unused:UNUSED_PAD src0_sel:WORD_1 src1_sel:WORD_1
	v_sub_f16_sdwa v69, v69, v71 dst_sel:DWORD dst_unused:UNUSED_PAD src0_sel:WORD_1 src1_sel:WORD_1
	v_add_f16_e32 v71, v178, v180
	v_sub_f16_sdwa v171, v178, v180 dst_sel:DWORD dst_unused:UNUSED_PAD src0_sel:WORD_1 src1_sel:WORD_1
	v_sub_f16_e32 v177, v176, v178
	v_sub_f16_e32 v179, v178, v176
	v_add_f16_sdwa v181, v178, v180 dst_sel:DWORD dst_unused:UNUSED_PAD src0_sel:WORD_1 src1_sel:WORD_1
	v_sub_f16_e32 v183, v178, v180
	v_sub_f16_sdwa v184, v176, v178 dst_sel:DWORD dst_unused:UNUSED_PAD src0_sel:WORD_1 src1_sel:WORD_1
	v_sub_f16_sdwa v178, v178, v176 dst_sel:DWORD dst_unused:UNUSED_PAD src0_sel:WORD_1 src1_sel:WORD_1
	;; [unrolled: 1-line block ×3, first 2 shown]
	v_add_f16_e32 v186, v176, v182
	v_sub_f16_e32 v187, v176, v182
	v_add_f16_sdwa v176, v176, v182 dst_sel:DWORD dst_unused:UNUSED_PAD src0_sel:WORD_1 src1_sel:WORD_1
	v_sub_f16_e32 v188, v182, v180
	v_fmamk_f16 v189, v72, 0x3b9c, v168
	v_sub_f16_e32 v190, v180, v182
	v_fmac_f16_e32 v168, 0xbb9c, v72
	v_sub_f16_sdwa v191, v182, v180 dst_sel:DWORD dst_unused:UNUSED_PAD src0_sel:WORD_1 src1_sel:WORD_1
	v_add_f16_e32 v76, v76, v172
	v_sub_f16_sdwa v172, v180, v182 dst_sel:DWORD dst_unused:UNUSED_PAD src0_sel:WORD_1 src1_sel:WORD_1
	v_pk_add_f16 v182, v68, v182
	v_lshrrev_b32_e32 v68, 16, v174
	v_fmac_f16_e32 v189, 0xb8b4, v167
	v_fmac_f16_e32 v168, 0x38b4, v167
	v_lshrrev_b32_e32 v180, 16, v67
	v_add_f16_e32 v69, v73, v69
	v_fma_f16 v73, -0.5, v181, v68
	v_fmac_f16_e32 v68, -0.5, v176
	v_fmac_f16_e32 v189, 0x34f2, v76
	v_fmac_f16_e32 v168, 0x34f2, v76
	v_fma_f16 v76, -0.5, v135, v180
	v_fma_f16 v71, -0.5, v71, v174
	;; [unrolled: 1-line block ×3, first 2 shown]
	v_fmamk_f16 v174, v183, 0xbb9c, v68
	v_fmac_f16_e32 v180, -0.5, v75
	v_fmac_f16_e32 v68, 0x3b9c, v183
	v_add_f16_e32 v172, v178, v172
	v_fmamk_f16 v176, v171, 0x3b9c, v135
	v_fmac_f16_e32 v174, 0x38b4, v187
	v_fmamk_f16 v75, v165, 0xbb9c, v180
	v_fmac_f16_e32 v135, 0xbb9c, v171
	v_fmac_f16_e32 v68, 0xb8b4, v187
	v_add_f16_e32 v178, v179, v190
	v_fmac_f16_e32 v176, 0xb8b4, v185
	v_fmac_f16_e32 v174, 0x34f2, v172
	;; [unrolled: 1-line block ×6, first 2 shown]
	v_mul_f16_e32 v179, 0xbb9c, v174
	v_mul_f16_e32 v174, 0x34f2, v174
	v_fmac_f16_e32 v135, 0x34f2, v178
	v_mul_f16_e32 v172, 0xbb9c, v68
	v_mul_f16_e32 v178, 0xb4f2, v68
	v_fmac_f16_e32 v179, 0x34f2, v176
	v_fmac_f16_e32 v75, 0x34f2, v69
	;; [unrolled: 1-line block ×3, first 2 shown]
	v_fmamk_f16 v176, v187, 0x3b9c, v73
	v_fmamk_f16 v181, v185, 0xbb9c, v71
	v_fmac_f16_e32 v73, 0xbb9c, v187
	v_fmac_f16_e32 v180, 0x3b9c, v165
	;; [unrolled: 1-line block ×4, first 2 shown]
	v_add_f16_e32 v135, v189, v179
	v_add_f16_e32 v186, v75, v174
	v_add_f16_e32 v177, v177, v188
	v_add_f16_e32 v184, v184, v191
	v_fmac_f16_e32 v176, 0x38b4, v183
	v_fmac_f16_e32 v181, 0xb8b4, v171
	v_fma_f16 v188, -0.5, v70, v67
	v_fmac_f16_e32 v71, 0x3b9c, v185
	v_fmac_f16_e32 v73, 0xb8b4, v183
	;; [unrolled: 1-line block ×3, first 2 shown]
	v_pack_b32_f16 v67, v135, v186
	v_fmac_f16_e32 v176, 0x34f2, v184
	v_fmac_f16_e32 v181, 0x34f2, v177
	v_add_f16_e32 v74, v74, v170
	v_fmamk_f16 v135, v167, 0xbb9c, v188
	v_fmamk_f16 v170, v169, 0x3b9c, v76
	v_fmac_f16_e32 v188, 0x3b9c, v167
	v_fmac_f16_e32 v76, 0xbb9c, v169
	;; [unrolled: 1-line block ×5, first 2 shown]
	v_mul_f16_e32 v186, 0xb8b4, v176
	v_mul_f16_e32 v190, 0x38b4, v181
	v_add_f16_e32 v166, v166, v173
	v_fmac_f16_e32 v135, 0xb8b4, v72
	v_fmac_f16_e32 v170, 0x38b4, v165
	;; [unrolled: 1-line block ×5, first 2 shown]
	v_mul_f16_e32 v165, 0xb8b4, v73
	v_mul_f16_e32 v73, 0xba79, v73
	v_add_f16_e32 v68, v168, v172
	v_add_f16_e32 v69, v180, v178
	v_fmac_f16_e32 v186, 0x3a79, v181
	v_fmac_f16_e32 v190, 0x3a79, v176
	;; [unrolled: 1-line block ×8, first 2 shown]
	v_pack_b32_f16 v68, v68, v69
	v_add_f16_e32 v69, v135, v186
	v_add_f16_e32 v70, v170, v190
	v_sub_f16_e32 v173, v189, v179
	v_sub_f16_e32 v72, v75, v174
	;; [unrolled: 1-line block ×4, first 2 shown]
	v_add_f16_e32 v75, v188, v165
	v_add_f16_e32 v135, v76, v73
	v_sub_f16_e32 v166, v168, v172
	v_sub_f16_e32 v165, v188, v165
	;; [unrolled: 1-line block ×4, first 2 shown]
	v_pack_b32_f16 v70, v69, v70
	v_pk_add_f16 v69, v175, v182
	v_pack_b32_f16 v72, v173, v72
	v_pack_b32_f16 v71, v71, v74
	v_pk_add_f16 v74, v175, v182 neg_lo:[0,1] neg_hi:[0,1]
	v_pack_b32_f16 v73, v75, v135
	v_pack_b32_f16 v76, v165, v76
	;; [unrolled: 1-line block ×3, first 2 shown]
	ds_write2_b64 v132, v[161:162], v[65:66] offset0:2 offset1:3
	ds_write_b64 v132, v[163:164] offset:32
	ds_write2_b64 v134, v[69:70], v[67:68] offset1:1
	ds_write2_b64 v134, v[73:74], v[71:72] offset0:2 offset1:3
	ds_write_b64 v134, v[75:76] offset:32
	s_waitcnt lgkmcnt(0)
	s_barrier
	buffer_gl0_inv
	ds_read2_b32 v[65:66], v123 offset0:112 offset1:232
	ds_read2_b32 v[68:69], v121 offset0:80 offset1:200
	;; [unrolled: 1-line block ×12, first 2 shown]
	s_waitcnt lgkmcnt(11)
	v_lshrrev_b32_e32 v67, 16, v66
	v_mul_f16_sdwa v70, v44, v66 dst_sel:DWORD dst_unused:UNUSED_PAD src0_sel:WORD_1 src1_sel:DWORD
	s_waitcnt lgkmcnt(10)
	v_lshrrev_b32_e32 v74, 16, v68
	v_mul_f16_sdwa v73, v45, v68 dst_sel:DWORD dst_unused:UNUSED_PAD src0_sel:WORD_1 src1_sel:DWORD
	s_waitcnt lgkmcnt(8)
	v_mul_f16_sdwa v76, v47, v166 dst_sel:DWORD dst_unused:UNUSED_PAD src0_sel:WORD_1 src1_sel:DWORD
	v_mul_f16_sdwa v71, v44, v67 dst_sel:DWORD dst_unused:UNUSED_PAD src0_sel:WORD_1 src1_sel:DWORD
	v_fma_f16 v72, v44, v67, -v70
	v_lshrrev_b32_e32 v67, 16, v162
	v_fma_f16 v73, v45, v74, -v73
	v_mul_f16_sdwa v70, v46, v162 dst_sel:DWORD dst_unused:UNUSED_PAD src0_sel:WORD_1 src1_sel:DWORD
	v_mul_f16_sdwa v75, v45, v74 dst_sel:DWORD dst_unused:UNUSED_PAD src0_sel:WORD_1 src1_sel:DWORD
	v_lshrrev_b32_e32 v74, 16, v166
	v_mul_f16_sdwa v163, v46, v67 dst_sel:DWORD dst_unused:UNUSED_PAD src0_sel:WORD_1 src1_sel:DWORD
	v_fmac_f16_e32 v71, v44, v66
	v_fma_f16 v135, v46, v67, -v70
	v_lshrrev_b32_e32 v70, 16, v69
	v_fma_f16 v164, v47, v74, -v76
	v_mul_f16_sdwa v165, v47, v74 dst_sel:DWORD dst_unused:UNUSED_PAD src0_sel:WORD_1 src1_sel:DWORD
	v_lshrrev_b32_e32 v74, 16, v167
	v_fmac_f16_e32 v75, v45, v68
	v_mul_f16_sdwa v67, v37, v70 dst_sel:DWORD dst_unused:UNUSED_PAD src0_sel:WORD_1 src1_sel:DWORD
	v_mul_f16_sdwa v44, v37, v69 dst_sel:DWORD dst_unused:UNUSED_PAD src0_sel:WORD_1 src1_sel:DWORD
	;; [unrolled: 1-line block ×4, first 2 shown]
	v_fmac_f16_e32 v163, v46, v162
	v_fmac_f16_e32 v165, v47, v166
	;; [unrolled: 1-line block ×3, first 2 shown]
	s_waitcnt lgkmcnt(7)
	v_lshrrev_b32_e32 v66, 16, v168
	v_fmac_f16_e32 v68, v39, v167
	v_mul_f16_sdwa v69, v36, v168 dst_sel:DWORD dst_unused:UNUSED_PAD src0_sel:WORD_1 src1_sel:DWORD
	v_fma_f16 v46, v37, v70, -v44
	v_fma_f16 v47, v39, v74, -v45
	s_waitcnt lgkmcnt(6)
	v_lshrrev_b32_e32 v37, 16, v170
	v_mul_f16_sdwa v39, v38, v170 dst_sel:DWORD dst_unused:UNUSED_PAD src0_sel:WORD_1 src1_sel:DWORD
	v_fma_f16 v45, v36, v66, -v69
	v_mul_f16_sdwa v66, v36, v66 dst_sel:DWORD dst_unused:UNUSED_PAD src0_sel:WORD_1 src1_sel:DWORD
	v_lshrrev_b32_e32 v44, 16, v169
	v_mul_f16_sdwa v132, v9, v161 dst_sel:DWORD dst_unused:UNUSED_PAD src0_sel:WORD_1 src1_sel:DWORD
	v_fma_f16 v70, v38, v37, -v39
	v_lshrrev_b32_e32 v39, 16, v161
	v_fmac_f16_e32 v66, v36, v168
	v_mul_f16_sdwa v69, v38, v37 dst_sel:DWORD dst_unused:UNUSED_PAD src0_sel:WORD_1 src1_sel:DWORD
	v_mul_f16_sdwa v37, v8, v44 dst_sel:DWORD dst_unused:UNUSED_PAD src0_sel:WORD_1 src1_sel:DWORD
	v_lshrrev_b32_e32 v74, 16, v171
	v_mul_f16_sdwa v36, v9, v39 dst_sel:DWORD dst_unused:UNUSED_PAD src0_sel:WORD_1 src1_sel:DWORD
	v_mul_f16_sdwa v76, v8, v169 dst_sel:DWORD dst_unused:UNUSED_PAD src0_sel:WORD_1 src1_sel:DWORD
	s_waitcnt lgkmcnt(5)
	v_lshrrev_b32_e32 v166, 16, v172
	v_fmac_f16_e32 v69, v38, v170
	v_fmac_f16_e32 v37, v8, v169
	v_fmac_f16_e32 v36, v9, v161
	ds_read2_b32 v[161:162], v107 offset0:64 offset1:184
	v_mul_f16_sdwa v38, v10, v74 dst_sel:DWORD dst_unused:UNUSED_PAD src0_sel:WORD_1 src1_sel:DWORD
	v_mul_f16_sdwa v134, v10, v171 dst_sel:DWORD dst_unused:UNUSED_PAD src0_sel:WORD_1 src1_sel:DWORD
	v_fma_f16 v8, v8, v44, -v76
	v_mul_f16_sdwa v76, v11, v172 dst_sel:DWORD dst_unused:UNUSED_PAD src0_sel:WORD_1 src1_sel:DWORD
	v_mul_f16_sdwa v44, v11, v166 dst_sel:DWORD dst_unused:UNUSED_PAD src0_sel:WORD_1 src1_sel:DWORD
	v_fmac_f16_e32 v38, v10, v171
	v_lshrrev_b32_e32 v168, 16, v173
	v_fma_f16 v9, v9, v39, -v132
	v_fma_f16 v39, v10, v74, -v134
	;; [unrolled: 1-line block ×3, first 2 shown]
	v_fmac_f16_e32 v44, v11, v172
	s_waitcnt lgkmcnt(5)
	v_lshrrev_b32_e32 v11, 16, v174
	v_mul_f16_sdwa v76, v29, v174 dst_sel:DWORD dst_unused:UNUSED_PAD src0_sel:WORD_1 src1_sel:DWORD
	v_mul_f16_sdwa v167, v28, v168 dst_sel:DWORD dst_unused:UNUSED_PAD src0_sel:WORD_1 src1_sel:DWORD
	;; [unrolled: 1-line block ×3, first 2 shown]
	v_lshrrev_b32_e32 v132, 16, v175
	v_mul_f16_sdwa v171, v29, v11 dst_sel:DWORD dst_unused:UNUSED_PAD src0_sel:WORD_1 src1_sel:DWORD
	v_fma_f16 v170, v29, v11, -v76
	v_fmac_f16_e32 v167, v28, v173
	s_waitcnt lgkmcnt(0)
	v_lshrrev_b32_e32 v11, 16, v161
	v_mul_f16_sdwa v76, v31, v161 dst_sel:DWORD dst_unused:UNUSED_PAD src0_sel:WORD_1 src1_sel:DWORD
	v_fma_f16 v166, v28, v168, -v74
	v_lshrrev_b32_e32 v28, 16, v177
	v_mul_f16_sdwa v74, v30, v177 dst_sel:DWORD dst_unused:UNUSED_PAD src0_sel:WORD_1 src1_sel:DWORD
	v_mul_f16_sdwa v173, v31, v11 dst_sel:DWORD dst_unused:UNUSED_PAD src0_sel:WORD_1 src1_sel:DWORD
	v_fma_f16 v172, v31, v11, -v76
	v_lshrrev_b32_e32 v11, 16, v162
	v_mul_f16_sdwa v169, v30, v28 dst_sel:DWORD dst_unused:UNUSED_PAD src0_sel:WORD_1 src1_sel:DWORD
	v_fma_f16 v168, v30, v28, -v74
	v_mul_f16_sdwa v74, v25, v132 dst_sel:DWORD dst_unused:UNUSED_PAD src0_sel:WORD_1 src1_sel:DWORD
	v_fmac_f16_e32 v171, v29, v174
	v_mul_f16_sdwa v76, v27, v11 dst_sel:DWORD dst_unused:UNUSED_PAD src0_sel:WORD_1 src1_sel:DWORD
	v_mul_f16_sdwa v28, v25, v175 dst_sel:DWORD dst_unused:UNUSED_PAD src0_sel:WORD_1 src1_sel:DWORD
	v_mul_f16_sdwa v29, v27, v162 dst_sel:DWORD dst_unused:UNUSED_PAD src0_sel:WORD_1 src1_sel:DWORD
	v_lshrrev_b32_e32 v134, 16, v178
	v_fmac_f16_e32 v169, v30, v177
	v_fmac_f16_e32 v173, v31, v161
	;; [unrolled: 1-line block ×3, first 2 shown]
	v_mul_f16_sdwa v161, v24, v178 dst_sel:DWORD dst_unused:UNUSED_PAD src0_sel:WORD_1 src1_sel:DWORD
	v_fmac_f16_e32 v76, v27, v162
	v_fma_f16 v30, v25, v132, -v28
	v_lshrrev_b32_e32 v25, 16, v180
	v_fma_f16 v31, v27, v11, -v29
	v_mul_f16_sdwa v11, v26, v180 dst_sel:DWORD dst_unused:UNUSED_PAD src0_sel:WORD_1 src1_sel:DWORD
	v_mul_f16_sdwa v162, v24, v134 dst_sel:DWORD dst_unused:UNUSED_PAD src0_sel:WORD_1 src1_sel:DWORD
	v_lshrrev_b32_e32 v28, 16, v179
	v_lshrrev_b32_e32 v29, 16, v176
	v_fma_f16 v132, v24, v134, -v161
	v_mul_f16_sdwa v161, v26, v25 dst_sel:DWORD dst_unused:UNUSED_PAD src0_sel:WORD_1 src1_sel:DWORD
	v_fma_f16 v134, v26, v25, -v11
	v_lshrrev_b32_e32 v174, 16, v181
	v_mul_f16_sdwa v25, v0, v28 dst_sel:DWORD dst_unused:UNUSED_PAD src0_sel:WORD_1 src1_sel:DWORD
	v_fmac_f16_e32 v162, v24, v178
	v_mul_f16_sdwa v27, v1, v29 dst_sel:DWORD dst_unused:UNUSED_PAD src0_sel:WORD_1 src1_sel:DWORD
	v_mul_f16_sdwa v11, v0, v179 dst_sel:DWORD dst_unused:UNUSED_PAD src0_sel:WORD_1 src1_sel:DWORD
	;; [unrolled: 1-line block ×4, first 2 shown]
	v_lshrrev_b32_e32 v177, 16, v186
	v_fmac_f16_e32 v161, v26, v180
	v_mul_f16_sdwa v26, v2, v174 dst_sel:DWORD dst_unused:UNUSED_PAD src0_sel:WORD_1 src1_sel:DWORD
	v_fmac_f16_e32 v25, v0, v179
	v_fmac_f16_e32 v27, v1, v176
	v_lshrrev_b32_e32 v176, 16, v185
	v_fma_f16 v28, v0, v28, -v11
	v_fma_f16 v11, v1, v29, -v24
	v_mul_f16_sdwa v0, v3, v185 dst_sel:DWORD dst_unused:UNUSED_PAD src0_sel:WORD_1 src1_sel:DWORD
	v_fma_f16 v24, v2, v174, -v175
	v_mul_f16_sdwa v174, v138, v177 dst_sel:DWORD dst_unused:UNUSED_PAD src0_sel:WORD_1 src1_sel:DWORD
	v_fmac_f16_e32 v26, v2, v181
	v_mul_f16_sdwa v1, v138, v186 dst_sel:DWORD dst_unused:UNUSED_PAD src0_sel:WORD_1 src1_sel:DWORD
	v_fma_f16 v2, v3, v176, -v0
	v_add_f16_e32 v0, v166, v168
	v_fmac_f16_e32 v174, v138, v186
	v_sub_f16_e32 v180, v135, v166
	v_fma_f16 v179, v138, v177, -v1
	v_add_f16_e32 v177, v167, v169
	v_fma_f16 v138, -0.5, v0, v72
	v_sub_f16_e32 v175, v163, v174
	ds_read2_b32 v[0:1], v118 offset1:120
	v_sub_f16_e32 v181, v179, v168
	v_fma_f16 v177, -0.5, v177, v71
	v_sub_f16_e32 v184, v135, v179
	v_fmamk_f16 v187, v175, 0x3b9c, v138
	v_sub_f16_e32 v186, v167, v169
	v_sub_f16_e32 v178, v163, v167
	;; [unrolled: 1-line block ×3, first 2 shown]
	v_add_f16_e32 v182, v180, v181
	v_fmamk_f16 v189, v184, 0xbb9c, v177
	v_sub_f16_e32 v183, v166, v168
	v_fmac_f16_e32 v187, 0x38b4, v186
	v_mul_f16_sdwa v29, v3, v176 dst_sel:DWORD dst_unused:UNUSED_PAD src0_sel:WORD_1 src1_sel:DWORD
	v_sub_f16_e32 v176, v75, v165
	v_sub_f16_e32 v180, v173, v171
	v_add_f16_e32 v181, v178, v188
	v_fmac_f16_e32 v189, 0xb8b4, v183
	v_fmac_f16_e32 v187, 0x34f2, v182
	;; [unrolled: 1-line block ×3, first 2 shown]
	v_add_f16_e32 v180, v176, v180
	v_sub_f16_e32 v185, v73, v164
	v_sub_f16_e32 v188, v172, v170
	v_fmac_f16_e32 v189, 0x34f2, v181
	v_mul_f16_e32 v176, 0xb8b4, v187
	s_waitcnt lgkmcnt(0)
	v_lshrrev_b32_e32 v3, 16, v0
	v_mul_f16_e32 v178, 0x3a79, v187
	v_add_f16_e32 v187, v0, v75
	v_add_f16_e32 v185, v185, v188
	v_fmac_f16_e32 v176, 0x3a79, v189
	v_add_f16_e32 v188, v3, v73
	v_fmac_f16_e32 v178, 0x38b4, v189
	v_add_f16_e32 v189, v71, v163
	v_add_f16_e32 v187, v187, v165
	;; [unrolled: 1-line block ×9, first 2 shown]
	v_fma_f16 v191, -0.5, v191, v0
	v_sub_f16_e32 v196, v164, v170
	v_fma_f16 v0, -0.5, v199, v0
	v_sub_f16_e32 v193, v73, v172
	v_sub_f16_e32 v194, v75, v173
	v_add_f16_e32 v188, v188, v170
	v_add_f16_e32 v189, v189, v169
	v_sub_f16_e32 v198, v165, v171
	v_add_f16_e32 v190, v190, v168
	v_add_f16_e32 v187, v187, v173
	v_sub_f16_e32 v75, v165, v75
	v_sub_f16_e32 v165, v171, v173
	v_fmamk_f16 v173, v196, 0x3b9c, v0
	v_fmac_f16_e32 v0, 0xbb9c, v196
	v_add_f16_e32 v188, v188, v172
	v_add_f16_e32 v189, v189, v174
	;; [unrolled: 1-line block ×4, first 2 shown]
	v_fmac_f16_e32 v173, 0xb8b4, v193
	v_fmac_f16_e32 v0, 0x38b4, v193
	v_add_f16_e32 v200, v187, v189
	v_add_f16_e32 v201, v188, v190
	;; [unrolled: 1-line block ×3, first 2 shown]
	v_fmac_f16_e32 v173, 0x34f2, v75
	v_fmac_f16_e32 v0, 0x34f2, v75
	v_sub_f16_e32 v75, v167, v163
	v_add_f16_e32 v167, v135, v179
	v_pack_b32_f16 v171, v200, v201
	v_sub_f16_e32 v200, v164, v73
	v_add_f16_e32 v73, v73, v172
	v_add_f16_e32 v163, v163, v174
	v_fmac_f16_e32 v72, -0.5, v167
	v_fma_f16 v192, -0.5, v192, v3
	v_sub_f16_e32 v170, v170, v172
	v_fmac_f16_e32 v3, -0.5, v73
	v_fmac_f16_e32 v71, -0.5, v163
	v_sub_f16_e32 v135, v166, v135
	v_sub_f16_e32 v163, v168, v179
	v_fmamk_f16 v166, v186, 0xbb9c, v72
	v_fmac_f16_e32 v72, 0x3b9c, v186
	v_fmac_f16_e32 v138, 0xbb9c, v175
	v_add_f16_e32 v73, v200, v170
	v_fmamk_f16 v170, v198, 0xbb9c, v3
	v_sub_f16_e32 v169, v169, v174
	v_fmac_f16_e32 v3, 0x3b9c, v198
	v_fmamk_f16 v167, v183, 0x3b9c, v71
	v_add_f16_e32 v135, v135, v163
	v_fmac_f16_e32 v166, 0x38b4, v175
	v_fmac_f16_e32 v71, 0xbb9c, v183
	;; [unrolled: 1-line block ×5, first 2 shown]
	v_fmamk_f16 v195, v193, 0xbb9c, v191
	v_fmamk_f16 v197, v194, 0x3b9c, v192
	v_fmac_f16_e32 v170, 0x38b4, v194
	v_fmac_f16_e32 v3, 0xb8b4, v194
	v_add_f16_e32 v75, v75, v169
	v_fmac_f16_e32 v167, 0xb8b4, v184
	v_fmac_f16_e32 v166, 0x34f2, v135
	;; [unrolled: 1-line block ×10, first 2 shown]
	ds_read2_b32 v[164:165], v90 offset0:32 offset1:152
	v_fmac_f16_e32 v170, 0x34f2, v73
	v_fmac_f16_e32 v3, 0x34f2, v73
	v_fmac_f16_e32 v167, 0x34f2, v75
	v_mul_f16_e32 v73, 0xbb9c, v166
	v_mul_f16_e32 v163, 0x34f2, v166
	v_fmac_f16_e32 v71, 0x34f2, v75
	v_mul_f16_e32 v75, 0xbb9c, v72
	v_mul_f16_e32 v72, 0xb4f2, v72
	v_fmac_f16_e32 v191, 0x38b4, v196
	v_fmac_f16_e32 v192, 0xb8b4, v198
	;; [unrolled: 1-line block ×3, first 2 shown]
	v_mul_f16_e32 v135, 0xb8b4, v138
	v_mul_f16_e32 v138, 0xba79, v138
	v_fmac_f16_e32 v195, 0x34f2, v180
	v_fmac_f16_e32 v197, 0x34f2, v185
	;; [unrolled: 1-line block ×10, first 2 shown]
	v_add_f16_e32 v202, v195, v176
	v_add_f16_e32 v199, v197, v178
	;; [unrolled: 1-line block ×6, first 2 shown]
	v_sub_f16_e32 v169, v187, v189
	v_add_f16_e32 v172, v191, v135
	v_add_f16_e32 v174, v192, v138
	v_sub_f16_e32 v175, v188, v190
	v_pack_b32_f16 v199, v202, v199
	v_pack_b32_f16 v71, v71, v166
	;; [unrolled: 1-line block ×5, first 2 shown]
	s_waitcnt lgkmcnt(0)
	s_barrier
	buffer_gl0_inv
	ds_write2_b32 v130, v171, v199 offset1:10
	ds_write2_b32 v130, v71, v166 offset0:20 offset1:30
	ds_write2_b32 v130, v167, v168 offset0:40 offset1:50
	v_sub_f16_e32 v71, v195, v176
	v_sub_f16_e32 v73, v173, v73
	;; [unrolled: 1-line block ×8, first 2 shown]
	v_lshrrev_b32_e32 v135, 16, v164
	v_pack_b32_f16 v71, v71, v166
	v_pack_b32_f16 v73, v73, v163
	;; [unrolled: 1-line block ×4, first 2 shown]
	v_mul_f16_sdwa v72, v126, v164 dst_sel:DWORD dst_unused:UNUSED_PAD src0_sel:WORD_1 src1_sel:DWORD
	v_mul_f16_sdwa v75, v126, v135 dst_sel:DWORD dst_unused:UNUSED_PAD src0_sel:WORD_1 src1_sel:DWORD
	v_add_f16_e32 v138, v68, v74
	ds_write2_b32 v130, v71, v73 offset0:60 offset1:70
	ds_write2_b32 v130, v0, v3 offset0:80 offset1:90
	v_add_f16_e32 v71, v67, v76
	v_fma_f16 v0, v126, v135, -v72
	v_fmac_f16_e32 v75, v126, v164
	v_sub_f16_e32 v72, v68, v67
	v_sub_f16_e32 v73, v74, v76
	v_add_f16_e32 v130, v1, v67
	v_fma_f16 v3, -0.5, v138, v1
	v_lshrrev_b32_e32 v126, 16, v1
	v_fmac_f16_e32 v1, -0.5, v71
	v_add_f16_e32 v71, v162, v161
	v_add_f16_e32 v72, v72, v73
	v_add_f16_e32 v73, v69, v75
	v_sub_f16_e32 v135, v162, v69
	v_sub_f16_e32 v138, v161, v75
	v_add_f16_e32 v163, v132, v134
	v_add_f16_e32 v164, v66, v69
	;; [unrolled: 1-line block ×3, first 2 shown]
	v_sub_f16_e32 v172, v67, v68
	v_sub_f16_e32 v173, v76, v74
	v_fma_f16 v71, -0.5, v71, v66
	v_fmac_f16_e32 v66, -0.5, v73
	v_add_f16_e32 v73, v135, v138
	v_fma_f16 v138, -0.5, v163, v45
	v_add_f16_e32 v163, v70, v0
	v_sub_f16_e32 v166, v132, v70
	v_sub_f16_e32 v167, v134, v0
	v_add_f16_e32 v130, v130, v74
	v_add_f16_e32 v172, v172, v173
	v_sub_f16_e32 v173, v46, v47
	v_sub_f16_e32 v176, v31, v30
	v_sub_f16_e32 v68, v68, v74
	v_add_f16_e32 v74, v164, v162
	v_add_f16_e32 v171, v45, v70
	v_fmac_f16_e32 v45, -0.5, v163
	v_add_f16_e32 v163, v166, v167
	v_sub_f16_e32 v167, v162, v161
	v_sub_f16_e32 v175, v69, v75
	v_add_f16_e32 v164, v173, v176
	v_sub_f16_e32 v69, v69, v162
	v_add_f16_e32 v74, v74, v161
	;; [unrolled: 2-line block ×4, first 2 shown]
	v_sub_f16_e32 v67, v67, v76
	v_sub_f16_e32 v76, v70, v0
	;; [unrolled: 1-line block ×4, first 2 shown]
	v_fmamk_f16 v162, v175, 0x3b9c, v138
	v_add_f16_e32 v69, v69, v161
	v_add_f16_e32 v132, v171, v132
	v_add_f16_e32 v161, v176, v47
	v_sub_f16_e32 v135, v47, v30
	v_fmamk_f16 v174, v167, 0xbb9c, v45
	v_add_f16_e32 v70, v70, v173
	v_fmamk_f16 v173, v76, 0xbb9c, v71
	v_fmac_f16_e32 v162, 0x38b4, v167
	v_add_f16_e32 v74, v74, v75
	v_add_f16_e32 v75, v132, v134
	;; [unrolled: 1-line block ×5, first 2 shown]
	v_fmamk_f16 v168, v135, 0x3b9c, v1
	v_fmac_f16_e32 v1, 0xbb9c, v135
	v_sub_f16_e32 v169, v46, v31
	v_fmamk_f16 v166, v170, 0x3b9c, v66
	v_fmac_f16_e32 v66, 0xbb9c, v170
	v_fmac_f16_e32 v45, 0x3b9c, v167
	;; [unrolled: 1-line block ×4, first 2 shown]
	v_add_f16_e32 v0, v75, v0
	v_add_f16_e32 v75, v132, v31
	v_fma_f16 v132, -0.5, v134, v126
	v_fmac_f16_e32 v126, -0.5, v177
	v_sub_f16_e32 v46, v47, v46
	v_sub_f16_e32 v30, v30, v31
	v_fmac_f16_e32 v174, 0x38b4, v175
	v_fmac_f16_e32 v1, 0x38b4, v169
	;; [unrolled: 1-line block ×3, first 2 shown]
	v_mul_f16_e32 v161, 0xb8b4, v162
	v_mul_f16_e32 v162, 0x3a79, v162
	v_fmac_f16_e32 v45, 0xb8b4, v175
	v_fmac_f16_e32 v66, 0x38b4, v76
	v_add_f16_e32 v30, v46, v30
	v_fmamk_f16 v46, v68, 0xbb9c, v126
	v_fmac_f16_e32 v168, 0xb8b4, v169
	v_fmac_f16_e32 v126, 0x3b9c, v68
	;; [unrolled: 1-line block ×7, first 2 shown]
	v_fmamk_f16 v171, v169, 0xbb9c, v3
	v_fmamk_f16 v173, v67, 0x3b9c, v132
	v_fmac_f16_e32 v45, 0x34f2, v163
	v_fmac_f16_e32 v66, 0x34f2, v73
	;; [unrolled: 1-line block ×7, first 2 shown]
	v_mul_f16_e32 v72, 0xbb9c, v174
	v_mul_f16_e32 v73, 0x34f2, v174
	v_fmac_f16_e32 v71, 0x3b9c, v76
	v_fmac_f16_e32 v138, 0xb8b4, v167
	;; [unrolled: 1-line block ×4, first 2 shown]
	v_mul_f16_e32 v177, 0xbb9c, v45
	v_fmac_f16_e32 v46, 0x34f2, v30
	v_fmac_f16_e32 v126, 0x34f2, v30
	v_mul_f16_e32 v30, 0xb4f2, v45
	v_fmac_f16_e32 v72, 0x34f2, v166
	v_fmac_f16_e32 v73, 0x3b9c, v166
	;; [unrolled: 1-line block ×6, first 2 shown]
	v_add_f16_e32 v134, v130, v74
	v_add_f16_e32 v176, v75, v0
	v_fmac_f16_e32 v171, 0x34f2, v172
	v_fmac_f16_e32 v173, 0x34f2, v164
	;; [unrolled: 1-line block ×4, first 2 shown]
	v_add_f16_e32 v45, v168, v72
	v_fmac_f16_e32 v3, 0x38b4, v135
	v_fmac_f16_e32 v132, 0xb8b4, v68
	;; [unrolled: 1-line block ×3, first 2 shown]
	v_mul_f16_e32 v66, 0xb8b4, v138
	v_mul_f16_e32 v67, 0xba79, v138
	v_add_f16_e32 v68, v46, v73
	v_add_f16_e32 v47, v171, v161
	;; [unrolled: 1-line block ×3, first 2 shown]
	v_pack_b32_f16 v31, v134, v176
	v_add_f16_e32 v134, v1, v177
	v_fmac_f16_e32 v3, 0x34f2, v172
	v_fmac_f16_e32 v132, 0x34f2, v164
	;; [unrolled: 1-line block ×4, first 2 shown]
	v_pack_b32_f16 v45, v45, v68
	v_add_f16_e32 v68, v126, v30
	v_pack_b32_f16 v47, v47, v178
	v_sub_f16_e32 v69, v130, v74
	v_add_f16_e32 v70, v3, v66
	v_add_f16_e32 v71, v132, v67
	v_sub_f16_e32 v0, v75, v0
	v_pack_b32_f16 v68, v134, v68
	ds_write2_b32 v128, v31, v47 offset1:10
	v_sub_f16_e32 v47, v173, v162
	v_pack_b32_f16 v31, v70, v71
	v_pack_b32_f16 v0, v69, v0
	ds_write2_b32 v128, v45, v68 offset0:20 offset1:30
	v_sub_f16_e32 v45, v171, v161
	v_lshrrev_b32_e32 v68, 16, v165
	v_sub_f16_e32 v1, v1, v177
	ds_write2_b32 v128, v31, v0 offset0:40 offset1:50
	v_sub_f16_e32 v0, v168, v72
	v_sub_f16_e32 v31, v46, v73
	v_pack_b32_f16 v45, v45, v47
	v_mul_f16_sdwa v46, v124, v68 dst_sel:DWORD dst_unused:UNUSED_PAD src0_sel:WORD_1 src1_sel:DWORD
	v_mul_f16_sdwa v47, v124, v165 dst_sel:DWORD dst_unused:UNUSED_PAD src0_sel:WORD_1 src1_sel:DWORD
	v_sub_f16_e32 v3, v3, v66
	v_sub_f16_e32 v30, v126, v30
	v_add_f16_e32 v71, v65, v36
	v_sub_f16_e32 v67, v132, v67
	v_fmac_f16_e32 v46, v124, v165
	v_fma_f16 v47, v124, v68, -v47
	v_add_f16_e32 v75, v37, v38
	v_pack_b32_f16 v0, v0, v31
	v_pack_b32_f16 v1, v1, v30
	;; [unrolled: 1-line block ×3, first 2 shown]
	v_sub_f16_e32 v30, v36, v44
	v_add_f16_e32 v31, v71, v44
	v_sub_f16_e32 v67, v29, v27
	v_add_f16_e32 v66, v44, v27
	v_add_f16_e32 v68, v36, v29
	;; [unrolled: 1-line block ×5, first 2 shown]
	v_sub_f16_e32 v76, v25, v38
	v_sub_f16_e32 v124, v26, v46
	v_add_f16_e32 v126, v39, v47
	v_sub_f16_e32 v134, v28, v39
	v_sub_f16_e32 v135, v24, v47
	ds_write2_b32 v128, v45, v0 offset0:60 offset1:70
	ds_write2_b32 v128, v1, v3 offset0:80 offset1:90
	v_add_f16_e32 v1, v31, v27
	v_add_f16_e32 v3, v30, v67
	v_sub_f16_e32 v30, v9, v10
	v_sub_f16_e32 v31, v2, v11
	v_add_f16_e32 v45, v75, v25
	v_fma_f16 v66, -0.5, v66, v65
	v_lshrrev_b32_e32 v69, 16, v65
	v_fmac_f16_e32 v65, -0.5, v68
	v_sub_f16_e32 v68, v44, v36
	v_sub_f16_e32 v72, v27, v29
	v_fma_f16 v70, -0.5, v70, v37
	v_fma_f16 v74, -0.5, v74, v8
	v_add_f16_e32 v130, v8, v39
	v_fmac_f16_e32 v8, -0.5, v126
	v_sub_f16_e32 v126, v25, v26
	v_fmac_f16_e32 v37, -0.5, v73
	v_add_f16_e32 v73, v76, v124
	v_add_f16_e32 v76, v134, v135
	v_sub_f16_e32 v135, v38, v46
	v_add_f16_e32 v1, v1, v29
	v_sub_f16_e32 v29, v36, v29
	v_add_f16_e32 v30, v30, v31
	v_add_f16_e32 v31, v45, v26
	v_sub_f16_e32 v25, v38, v25
	v_sub_f16_e32 v26, v46, v26
	;; [unrolled: 1-line block ×5, first 2 shown]
	v_add_f16_e32 v67, v9, v2
	v_add_f16_e32 v25, v25, v26
	;; [unrolled: 1-line block ×5, first 2 shown]
	v_fmamk_f16 v134, v126, 0xbb9c, v8
	v_fmac_f16_e32 v8, 0x3b9c, v126
	v_add_f16_e32 v24, v26, v24
	v_add_f16_e32 v26, v10, v11
	;; [unrolled: 1-line block ×3, first 2 shown]
	v_sub_f16_e32 v162, v39, v47
	v_sub_f16_e32 v27, v44, v27
	v_fmamk_f16 v39, v135, 0x3b9c, v74
	v_fma_f16 v26, -0.5, v26, v69
	v_add_f16_e32 v38, v38, v11
	v_fmac_f16_e32 v69, -0.5, v67
	v_fmac_f16_e32 v74, 0xbb9c, v135
	v_sub_f16_e32 v138, v10, v11
	v_fmamk_f16 v161, v124, 0x3b9c, v37
	v_fmac_f16_e32 v37, 0xbb9c, v124
	v_fmac_f16_e32 v8, 0xb8b4, v135
	v_sub_f16_e32 v164, v9, v2
	v_fmamk_f16 v36, v162, 0xbb9c, v70
	v_add_f16_e32 v38, v38, v2
	v_sub_f16_e32 v9, v10, v9
	v_sub_f16_e32 v2, v11, v2
	v_fmac_f16_e32 v134, 0x38b4, v135
	v_fmamk_f16 v10, v27, 0xbb9c, v69
	v_fmac_f16_e32 v69, 0x3b9c, v27
	v_fmac_f16_e32 v70, 0x3b9c, v162
	;; [unrolled: 1-line block ×4, first 2 shown]
	v_fmamk_f16 v163, v138, 0x3b9c, v65
	v_fmac_f16_e32 v65, 0xbb9c, v138
	v_fmac_f16_e32 v37, 0x38b4, v162
	;; [unrolled: 1-line block ×3, first 2 shown]
	v_add_f16_e32 v31, v31, v46
	v_fmac_f16_e32 v36, 0xb8b4, v124
	v_fmamk_f16 v45, v164, 0xbb9c, v66
	v_fmamk_f16 v46, v29, 0x3b9c, v26
	v_fmac_f16_e32 v161, 0xb8b4, v162
	v_fmac_f16_e32 v134, 0x34f2, v76
	v_add_f16_e32 v2, v9, v2
	v_fmac_f16_e32 v10, 0x38b4, v29
	v_fmac_f16_e32 v69, 0xb8b4, v29
	v_fmac_f16_e32 v66, 0x3b9c, v164
	v_fmac_f16_e32 v26, 0xbb9c, v29
	v_fmac_f16_e32 v70, 0x38b4, v124
	v_fmac_f16_e32 v74, 0x34f2, v28
	v_fmac_f16_e32 v39, 0x34f2, v28
	v_add_f16_e32 v68, v68, v72
	v_fmac_f16_e32 v65, 0x38b4, v164
	v_fmac_f16_e32 v37, 0x34f2, v73
	v_mul_f16_e32 v72, 0xbb9c, v8
	v_fmac_f16_e32 v36, 0x34f2, v25
	v_fmac_f16_e32 v163, 0xb8b4, v164
	v_fmac_f16_e32 v161, 0x34f2, v73
	v_mul_f16_e32 v9, 0xbb9c, v134
	v_mul_f16_e32 v11, 0x34f2, v134
	v_fmac_f16_e32 v10, 0x34f2, v2
	v_fmac_f16_e32 v69, 0x34f2, v2
	v_mul_f16_e32 v2, 0xb4f2, v8
	v_fmac_f16_e32 v66, 0x38b4, v138
	v_fmac_f16_e32 v26, 0xb8b4, v27
	;; [unrolled: 1-line block ×3, first 2 shown]
	v_mul_f16_e32 v8, 0xb8b4, v74
	v_mul_f16_e32 v25, 0xba79, v74
	v_add_f16_e32 v24, v24, v47
	v_mul_f16_e32 v44, 0xb8b4, v39
	v_mul_f16_e32 v39, 0x3a79, v39
	v_fmac_f16_e32 v45, 0xb8b4, v138
	v_fmac_f16_e32 v46, 0x38b4, v27
	;; [unrolled: 1-line block ×14, first 2 shown]
	v_add_f16_e32 v36, v1, v31
	v_add_f16_e32 v47, v38, v24
	v_fmac_f16_e32 v45, 0x34f2, v3
	v_fmac_f16_e32 v46, 0x34f2, v30
	v_add_f16_e32 v0, v65, v72
	v_add_f16_e32 v27, v163, v9
	;; [unrolled: 1-line block ×6, first 2 shown]
	v_pack_b32_f16 v36, v36, v47
	v_add_f16_e32 v47, v45, v44
	v_add_f16_e32 v71, v46, v39
	v_sub_f16_e32 v1, v1, v31
	v_sub_f16_e32 v24, v38, v24
	v_pack_b32_f16 v3, v27, v3
	v_pack_b32_f16 v0, v0, v28
	;; [unrolled: 1-line block ×3, first 2 shown]
	v_sub_f16_e32 v28, v45, v44
	v_sub_f16_e32 v9, v163, v9
	;; [unrolled: 1-line block ×8, first 2 shown]
	v_pack_b32_f16 v29, v47, v71
	v_pack_b32_f16 v1, v1, v24
	;; [unrolled: 1-line block ×6, first 2 shown]
	ds_write2_b32 v136, v36, v29 offset1:10
	ds_write2_b32 v136, v3, v0 offset0:20 offset1:30
	ds_write2_b32 v136, v27, v1 offset0:40 offset1:50
	;; [unrolled: 1-line block ×4, first 2 shown]
	s_waitcnt lgkmcnt(0)
	s_barrier
	buffer_gl0_inv
	ds_read2_b32 v[0:1], v102 offset0:96 offset1:216
	ds_read2_b32 v[2:3], v99 offset0:48 offset1:168
	;; [unrolled: 1-line block ×7, first 2 shown]
	s_waitcnt lgkmcnt(6)
	v_lshrrev_b32_e32 v10, 16, v1
	v_mul_f16_sdwa v11, v20, v1 dst_sel:DWORD dst_unused:UNUSED_PAD src0_sel:WORD_1 src1_sel:DWORD
	s_waitcnt lgkmcnt(5)
	v_lshrrev_b32_e32 v24, 16, v2
	v_mul_f16_sdwa v27, v21, v2 dst_sel:DWORD dst_unused:UNUSED_PAD src0_sel:WORD_1 src1_sel:DWORD
	s_waitcnt lgkmcnt(4)
	v_mul_f16_sdwa v28, v22, v47 dst_sel:DWORD dst_unused:UNUSED_PAD src0_sel:WORD_1 src1_sel:DWORD
	v_mul_f16_sdwa v25, v20, v10 dst_sel:DWORD dst_unused:UNUSED_PAD src0_sel:WORD_1 src1_sel:DWORD
	v_fma_f16 v26, v20, v10, -v11
	ds_read2_b32 v[10:11], v121 offset0:80 offset1:200
	v_fma_f16 v69, v21, v24, -v27
	v_lshrrev_b32_e32 v27, 16, v47
	v_mul_f16_sdwa v70, v21, v24 dst_sel:DWORD dst_unused:UNUSED_PAD src0_sel:WORD_1 src1_sel:DWORD
	s_waitcnt lgkmcnt(4)
	v_lshrrev_b32_e32 v24, 16, v8
	v_mul_f16_sdwa v31, v23, v8 dst_sel:DWORD dst_unused:UNUSED_PAD src0_sel:WORD_1 src1_sel:DWORD
	v_fmac_f16_e32 v25, v20, v1
	v_fma_f16 v71, v22, v27, -v28
	v_mul_f16_sdwa v72, v22, v27 dst_sel:DWORD dst_unused:UNUSED_PAD src0_sel:WORD_1 src1_sel:DWORD
	v_lshrrev_b32_e32 v27, 16, v3
	v_lshrrev_b32_e32 v1, 16, v9
	v_fma_f16 v73, v23, v24, -v31
	v_mul_f16_sdwa v74, v23, v24 dst_sel:DWORD dst_unused:UNUSED_PAD src0_sel:WORD_1 src1_sel:DWORD
	v_fmac_f16_e32 v72, v22, v47
	v_mul_f16_sdwa v24, v17, v27 dst_sel:DWORD dst_unused:UNUSED_PAD src0_sel:WORD_1 src1_sel:DWORD
	v_mul_f16_sdwa v22, v19, v1 dst_sel:DWORD dst_unused:UNUSED_PAD src0_sel:WORD_1 src1_sel:DWORD
	v_fmac_f16_e32 v70, v21, v2
	v_fmac_f16_e32 v74, v23, v8
	v_mul_f16_sdwa v2, v17, v3 dst_sel:DWORD dst_unused:UNUSED_PAD src0_sel:WORD_1 src1_sel:DWORD
	v_fmac_f16_e32 v24, v17, v3
	v_mul_f16_sdwa v3, v19, v9 dst_sel:DWORD dst_unused:UNUSED_PAD src0_sel:WORD_1 src1_sel:DWORD
	s_waitcnt lgkmcnt(0)
	v_lshrrev_b32_e32 v23, 16, v10
	v_mul_f16_sdwa v20, v16, v10 dst_sel:DWORD dst_unused:UNUSED_PAD src0_sel:WORD_1 src1_sel:DWORD
	v_fmac_f16_e32 v22, v19, v9
	ds_read2_b32 v[8:9], v117 offset0:32 offset1:152
	v_fma_f16 v39, v17, v27, -v2
	v_fma_f16 v38, v19, v1, -v3
	;; [unrolled: 1-line block ×3, first 2 shown]
	ds_read2_b32 v[20:21], v94 offset0:80 offset1:200
	v_lshrrev_b32_e32 v1, 16, v29
	v_mul_f16_sdwa v2, v18, v29 dst_sel:DWORD dst_unused:UNUSED_PAD src0_sel:WORD_1 src1_sel:DWORD
	v_lshrrev_b32_e32 v3, 16, v11
	v_mul_f16_sdwa v31, v16, v23 dst_sel:DWORD dst_unused:UNUSED_PAD src0_sel:WORD_1 src1_sel:DWORD
	;; [unrolled: 2-line block ×3, first 2 shown]
	v_fma_f16 v44, v18, v1, -v2
	v_mul_f16_sdwa v17, v40, v3 dst_sel:DWORD dst_unused:UNUSED_PAD src0_sel:WORD_1 src1_sel:DWORD
	v_fmac_f16_e32 v31, v16, v10
	v_mul_f16_sdwa v1, v40, v11 dst_sel:DWORD dst_unused:UNUSED_PAD src0_sel:WORD_1 src1_sel:DWORD
	v_mul_f16_sdwa v19, v42, v27 dst_sel:DWORD dst_unused:UNUSED_PAD src0_sel:WORD_1 src1_sel:DWORD
	v_fmac_f16_e32 v45, v18, v29
	v_fmac_f16_e32 v17, v40, v11
	v_mul_f16_sdwa v2, v42, v30 dst_sel:DWORD dst_unused:UNUSED_PAD src0_sel:WORD_1 src1_sel:DWORD
	v_fma_f16 v18, v40, v3, -v1
	s_waitcnt lgkmcnt(1)
	v_lshrrev_b32_e32 v10, 16, v8
	v_mul_f16_sdwa v11, v41, v8 dst_sel:DWORD dst_unused:UNUSED_PAD src0_sel:WORD_1 src1_sel:DWORD
	v_fmac_f16_e32 v19, v42, v30
	v_lshrrev_b32_e32 v3, 16, v9
	s_waitcnt lgkmcnt(0)
	v_lshrrev_b32_e32 v1, 16, v20
	v_mul_f16_sdwa v29, v41, v10 dst_sel:DWORD dst_unused:UNUSED_PAD src0_sel:WORD_1 src1_sel:DWORD
	v_fma_f16 v36, v41, v10, -v11
	v_mul_f16_sdwa v11, v43, v20 dst_sel:DWORD dst_unused:UNUSED_PAD src0_sel:WORD_1 src1_sel:DWORD
	v_lshrrev_b32_e32 v16, 16, v21
	v_mul_f16_sdwa v30, v43, v1 dst_sel:DWORD dst_unused:UNUSED_PAD src0_sel:WORD_1 src1_sel:DWORD
	v_fmac_f16_e32 v29, v41, v8
	ds_read2_b32 v[40:41], v107 offset0:64 offset1:184
	v_fma_f16 v27, v42, v27, -v2
	v_mul_f16_sdwa v2, v33, v3 dst_sel:DWORD dst_unused:UNUSED_PAD src0_sel:WORD_1 src1_sel:DWORD
	v_fma_f16 v37, v43, v1, -v11
	v_mul_f16_sdwa v1, v35, v16 dst_sel:DWORD dst_unused:UNUSED_PAD src0_sel:WORD_1 src1_sel:DWORD
	v_fmac_f16_e32 v30, v43, v20
	v_mul_f16_sdwa v8, v33, v9 dst_sel:DWORD dst_unused:UNUSED_PAD src0_sel:WORD_1 src1_sel:DWORD
	v_mul_f16_sdwa v10, v35, v21 dst_sel:DWORD dst_unused:UNUSED_PAD src0_sel:WORD_1 src1_sel:DWORD
	v_lshrrev_b32_e32 v11, 16, v65
	v_mul_f16_sdwa v20, v32, v65 dst_sel:DWORD dst_unused:UNUSED_PAD src0_sel:WORD_1 src1_sel:DWORD
	ds_read2_b32 v[42:43], v118 offset1:120
	v_fmac_f16_e32 v2, v33, v9
	v_fmac_f16_e32 v1, v35, v21
	v_fma_f16 v9, v33, v3, -v8
	v_lshrrev_b32_e32 v23, 16, v67
	v_mul_f16_sdwa v21, v34, v67 dst_sel:DWORD dst_unused:UNUSED_PAD src0_sel:WORD_1 src1_sel:DWORD
	v_fma_f16 v8, v35, v16, -v10
	v_fma_f16 v3, v32, v11, -v20
	v_mul_f16_sdwa v11, v32, v11 dst_sel:DWORD dst_unused:UNUSED_PAD src0_sel:WORD_1 src1_sel:DWORD
	v_lshrrev_b32_e32 v33, 16, v66
	v_lshrrev_b32_e32 v35, 16, v46
	v_fma_f16 v21, v34, v23, -v21
	v_mul_f16_sdwa v23, v34, v23 dst_sel:DWORD dst_unused:UNUSED_PAD src0_sel:WORD_1 src1_sel:DWORD
	v_lshrrev_b32_e32 v47, 16, v68
	v_mul_f16_sdwa v10, v4, v33 dst_sel:DWORD dst_unused:UNUSED_PAD src0_sel:WORD_1 src1_sel:DWORD
	v_fmac_f16_e32 v11, v32, v65
	v_mul_f16_sdwa v16, v5, v35 dst_sel:DWORD dst_unused:UNUSED_PAD src0_sel:WORD_1 src1_sel:DWORD
	v_mul_f16_sdwa v32, v4, v66 dst_sel:DWORD dst_unused:UNUSED_PAD src0_sel:WORD_1 src1_sel:DWORD
	v_fmac_f16_e32 v23, v34, v67
	v_mul_f16_sdwa v20, v6, v47 dst_sel:DWORD dst_unused:UNUSED_PAD src0_sel:WORD_1 src1_sel:DWORD
	v_fmac_f16_e32 v10, v4, v66
	v_fmac_f16_e32 v16, v5, v46
	v_mul_f16_sdwa v34, v5, v46 dst_sel:DWORD dst_unused:UNUSED_PAD src0_sel:WORD_1 src1_sel:DWORD
	v_mul_f16_sdwa v46, v6, v68 dst_sel:DWORD dst_unused:UNUSED_PAD src0_sel:WORD_1 src1_sel:DWORD
	v_fma_f16 v4, v4, v33, -v32
	s_waitcnt lgkmcnt(1)
	v_lshrrev_b32_e32 v32, 16, v41
	v_mul_f16_sdwa v33, v137, v41 dst_sel:DWORD dst_unused:UNUSED_PAD src0_sel:WORD_1 src1_sel:DWORD
	v_fmac_f16_e32 v20, v6, v68
	v_fma_f16 v5, v5, v35, -v34
	v_fma_f16 v6, v6, v47, -v46
	s_waitcnt lgkmcnt(0)
	v_lshrrev_b32_e32 v46, 16, v42
	v_mul_f16_sdwa v34, v137, v32 dst_sel:DWORD dst_unused:UNUSED_PAD src0_sel:WORD_1 src1_sel:DWORD
	v_fma_f16 v32, v137, v32, -v33
	v_add_f16_e32 v65, v69, v73
	v_sub_f16_e32 v66, v69, v73
	v_add_f16_e32 v47, v46, v69
	v_fmac_f16_e32 v34, v137, v41
	v_add_f16_e32 v41, v71, v32
	v_add_f16_e32 v67, v26, v71
	v_fmac_f16_e32 v46, -0.5, v65
	v_add_f16_e32 v65, v42, v70
	v_add_f16_e32 v69, v25, v72
	v_lshrrev_b32_e32 v33, 16, v40
	v_add_f16_e32 v47, v47, v73
	v_fmac_f16_e32 v26, -0.5, v41
	v_add_f16_e32 v41, v72, v34
	v_sub_f16_e32 v68, v72, v34
	v_add_f16_e32 v65, v65, v74
	v_add_f16_e32 v69, v69, v34
	;; [unrolled: 1-line block ×3, first 2 shown]
	v_mul_f16_sdwa v35, v7, v40 dst_sel:DWORD dst_unused:UNUSED_PAD src0_sel:WORD_1 src1_sel:DWORD
	v_fmac_f16_e32 v25, -0.5, v41
	v_fmamk_f16 v41, v68, 0x3aee, v26
	v_sub_f16_e32 v71, v71, v32
	v_add_f16_e32 v72, v70, v74
	v_mul_f16_sdwa v75, v7, v33 dst_sel:DWORD dst_unused:UNUSED_PAD src0_sel:WORD_1 src1_sel:DWORD
	v_add_f16_e32 v32, v65, v69
	v_add_f16_e32 v34, v47, v67
	v_sub_f16_e32 v70, v70, v74
	v_mul_f16_e32 v73, 0xbaee, v41
	v_fmamk_f16 v74, v71, 0xbaee, v25
	v_mul_f16_e32 v41, 0.5, v41
	v_fma_f16 v42, -0.5, v72, v42
	v_fma_f16 v126, v7, v33, -v35
	v_fmac_f16_e32 v75, v7, v40
	v_fmac_f16_e32 v26, 0xbaee, v68
	v_pack_b32_f16 v7, v32, v34
	ds_read2_b32 v[32:33], v112 offset0:48 offset1:168
	v_fmac_f16_e32 v73, 0.5, v74
	v_fmac_f16_e32 v41, 0x3aee, v74
	v_fmamk_f16 v72, v66, 0xbaee, v42
	v_fmamk_f16 v74, v70, 0x3aee, v46
	v_fmac_f16_e32 v25, 0x3aee, v71
	v_mul_f16_e32 v68, 0xbaee, v26
	v_mul_f16_e32 v71, -0.5, v26
	v_add_f16_e32 v76, v72, v73
	v_add_f16_e32 v124, v74, v41
	v_fmac_f16_e32 v42, 0x3aee, v66
	v_fmac_f16_e32 v46, 0xbaee, v70
	v_fmac_f16_e32 v68, -0.5, v25
	v_fmac_f16_e32 v71, 0x3aee, v25
	v_pack_b32_f16 v40, v76, v124
	ds_read2_b32 v[34:35], v123 offset0:112 offset1:232
	ds_read2_b32 v[25:26], v90 offset0:32 offset1:152
	v_add_f16_e32 v66, v42, v68
	v_add_f16_e32 v70, v46, v71
	s_waitcnt lgkmcnt(0)
	s_barrier
	buffer_gl0_inv
	ds_write2_b32 v148, v7, v40 offset1:100
	v_sub_f16_e32 v7, v65, v69
	v_sub_f16_e32 v40, v47, v67
	v_pack_b32_f16 v47, v66, v70
	v_sub_f16_e32 v65, v72, v73
	v_sub_f16_e32 v41, v74, v41
	v_lshrrev_b32_e32 v66, 16, v32
	v_mul_f16_sdwa v67, v127, v32 dst_sel:DWORD dst_unused:UNUSED_PAD src0_sel:WORD_1 src1_sel:DWORD
	v_pack_b32_f16 v7, v7, v40
	v_sub_f16_e32 v42, v42, v68
	v_pack_b32_f16 v40, v65, v41
	v_mul_f16_sdwa v41, v127, v66 dst_sel:DWORD dst_unused:UNUSED_PAD src0_sel:WORD_1 src1_sel:DWORD
	v_fma_f16 v65, v127, v66, -v67
	v_sub_f16_e32 v46, v46, v71
	v_lshrrev_b32_e32 v66, 16, v43
	v_add_f16_e32 v68, v28, v44
	v_fmac_f16_e32 v41, v127, v32
	v_add_f16_e32 v32, v44, v65
	v_pack_b32_f16 v42, v42, v46
	v_add_f16_e32 v46, v24, v22
	v_add_f16_e32 v67, v43, v24
	v_sub_f16_e32 v69, v45, v41
	v_fmac_f16_e32 v28, -0.5, v32
	v_add_f16_e32 v32, v45, v41
	v_fmac_f16_e32 v43, -0.5, v46
	v_add_f16_e32 v46, v66, v39
	v_add_f16_e32 v70, v39, v38
	;; [unrolled: 1-line block ×3, first 2 shown]
	v_fmac_f16_e32 v31, -0.5, v32
	v_fmamk_f16 v32, v69, 0x3aee, v28
	v_sub_f16_e32 v44, v44, v65
	v_sub_f16_e32 v39, v39, v38
	v_add_f16_e32 v38, v46, v38
	v_fmac_f16_e32 v66, -0.5, v70
	v_add_f16_e32 v46, v67, v22
	v_mul_f16_e32 v67, 0xbaee, v32
	v_fmamk_f16 v70, v44, 0xbaee, v31
	v_mul_f16_e32 v32, 0.5, v32
	v_sub_f16_e32 v22, v24, v22
	v_fmac_f16_e32 v28, 0xbaee, v69
	v_add_f16_e32 v24, v45, v41
	v_add_f16_e32 v41, v68, v65
	v_fmac_f16_e32 v67, 0.5, v70
	v_fmac_f16_e32 v32, 0x3aee, v70
	v_fmamk_f16 v45, v39, 0xbaee, v43
	v_fmamk_f16 v69, v22, 0x3aee, v66
	v_fmac_f16_e32 v31, 0x3aee, v44
	v_mul_f16_e32 v44, 0xbaee, v28
	v_mul_f16_e32 v28, -0.5, v28
	v_add_f16_e32 v65, v46, v24
	v_add_f16_e32 v68, v38, v41
	;; [unrolled: 1-line block ×4, first 2 shown]
	v_fmac_f16_e32 v43, 0x3aee, v39
	v_fmac_f16_e32 v66, 0xbaee, v22
	v_fmac_f16_e32 v44, -0.5, v31
	v_fmac_f16_e32 v28, 0x3aee, v31
	v_pack_b32_f16 v22, v65, v68
	v_pack_b32_f16 v31, v70, v71
	ds_write2_b32 v141, v47, v7 offset0:72 offset1:172
	v_add_f16_e32 v7, v43, v44
	v_add_f16_e32 v39, v66, v28
	ds_write2_b32 v144, v40, v42 offset0:144 offset1:244
	ds_write2_b32 v140, v22, v31 offset1:100
	v_sub_f16_e32 v22, v46, v24
	v_sub_f16_e32 v24, v38, v41
	;; [unrolled: 1-line block ×3, first 2 shown]
	v_pack_b32_f16 v7, v7, v39
	v_sub_f16_e32 v32, v69, v32
	v_mul_f16_sdwa v39, v131, v33 dst_sel:DWORD dst_unused:UNUSED_PAD src0_sel:WORD_1 src1_sel:DWORD
	v_pack_b32_f16 v22, v22, v24
	v_lshrrev_b32_e32 v24, 16, v33
	v_sub_f16_e32 v31, v43, v44
	v_sub_f16_e32 v28, v66, v28
	v_pack_b32_f16 v32, v38, v32
	v_add_f16_e32 v41, v3, v21
	v_mul_f16_sdwa v38, v131, v24 dst_sel:DWORD dst_unused:UNUSED_PAD src0_sel:WORD_1 src1_sel:DWORD
	v_fma_f16 v24, v131, v24, -v39
	v_pack_b32_f16 v28, v31, v28
	v_lshrrev_b32_e32 v31, 16, v34
	ds_write2_b32 v143, v7, v22 offset0:72 offset1:172
	ds_write2_b32 v146, v32, v28 offset0:144 offset1:244
	v_fmac_f16_e32 v38, v131, v33
	v_add_f16_e32 v22, v27, v24
	v_add_f16_e32 v7, v31, v36
	;; [unrolled: 1-line block ×3, first 2 shown]
	v_sub_f16_e32 v32, v36, v37
	v_add_f16_e32 v33, v18, v27
	v_fmac_f16_e32 v18, -0.5, v22
	v_add_f16_e32 v22, v19, v38
	v_sub_f16_e32 v36, v19, v38
	v_add_f16_e32 v7, v7, v37
	v_fmac_f16_e32 v31, -0.5, v28
	v_add_f16_e32 v28, v34, v29
	v_add_f16_e32 v19, v17, v19
	v_fmac_f16_e32 v17, -0.5, v22
	v_fmamk_f16 v22, v36, 0x3aee, v18
	v_sub_f16_e32 v27, v27, v24
	v_add_f16_e32 v37, v29, v30
	v_add_f16_e32 v28, v28, v30
	v_sub_f16_e32 v29, v29, v30
	v_mul_f16_e32 v30, 0xbaee, v22
	v_fmamk_f16 v39, v27, 0xbaee, v17
	v_mul_f16_e32 v22, 0.5, v22
	v_fma_f16 v34, -0.5, v37, v34
	v_fmac_f16_e32 v18, 0xbaee, v36
	v_add_f16_e32 v19, v19, v38
	v_add_f16_e32 v24, v33, v24
	v_fmac_f16_e32 v30, 0.5, v39
	v_fmac_f16_e32 v22, 0x3aee, v39
	v_fmamk_f16 v33, v32, 0xbaee, v34
	v_fmamk_f16 v36, v29, 0x3aee, v31
	v_fmac_f16_e32 v17, 0x3aee, v27
	v_mul_f16_e32 v27, 0xbaee, v18
	v_mul_f16_e32 v18, -0.5, v18
	v_add_f16_e32 v37, v28, v19
	v_add_f16_e32 v39, v33, v30
	;; [unrolled: 1-line block ×3, first 2 shown]
	v_fmac_f16_e32 v27, -0.5, v17
	v_fmac_f16_e32 v18, 0x3aee, v17
	v_sub_f16_e32 v17, v28, v19
	v_lshrrev_b32_e32 v28, 16, v25
	v_add_f16_e32 v38, v7, v24
	v_fmac_f16_e32 v34, 0x3aee, v32
	v_pack_b32_f16 v32, v39, v40
	v_sub_f16_e32 v7, v7, v24
	v_mul_f16_sdwa v24, v129, v25 dst_sel:DWORD dst_unused:UNUSED_PAD src0_sel:WORD_1 src1_sel:DWORD
	v_mul_f16_sdwa v39, v129, v28 dst_sel:DWORD dst_unused:UNUSED_PAD src0_sel:WORD_1 src1_sel:DWORD
	v_fmac_f16_e32 v31, 0xbaee, v29
	v_lshrrev_b32_e32 v29, 16, v26
	v_pack_b32_f16 v7, v17, v7
	v_fma_f16 v17, v129, v28, -v24
	v_fmac_f16_e32 v39, v129, v25
	v_mul_f16_sdwa v25, v125, v26 dst_sel:DWORD dst_unused:UNUSED_PAD src0_sel:WORD_1 src1_sel:DWORD
	v_pack_b32_f16 v37, v37, v38
	v_add_f16_e32 v19, v34, v27
	v_add_f16_e32 v38, v31, v18
	v_mul_f16_sdwa v40, v125, v29 dst_sel:DWORD dst_unused:UNUSED_PAD src0_sel:WORD_1 src1_sel:DWORD
	v_add_f16_e32 v24, v2, v1
	v_add_f16_e32 v28, v21, v17
	v_fma_f16 v25, v125, v29, -v25
	v_pack_b32_f16 v19, v19, v38
	v_fmac_f16_e32 v40, v125, v26
	v_lshrrev_b32_e32 v26, 16, v35
	v_add_f16_e32 v38, v35, v2
	v_fmac_f16_e32 v35, -0.5, v24
	v_add_f16_e32 v24, v23, v39
	v_fmac_f16_e32 v3, -0.5, v28
	v_sub_f16_e32 v28, v23, v39
	v_add_f16_e32 v43, v6, v25
	ds_write2_b32 v149, v37, v32 offset1:100
	ds_write2_b32 v150, v19, v7 offset0:72 offset1:172
	v_add_f16_e32 v32, v9, v8
	v_sub_f16_e32 v42, v9, v8
	v_add_f16_e32 v23, v11, v23
	v_fmac_f16_e32 v11, -0.5, v24
	v_sub_f16_e32 v21, v21, v17
	v_fmamk_f16 v24, v28, 0x3aee, v3
	v_add_f16_e32 v46, v20, v40
	v_add_f16_e32 v47, v4, v6
	v_fmac_f16_e32 v4, -0.5, v43
	v_sub_f16_e32 v43, v20, v40
	v_add_f16_e32 v9, v26, v9
	v_fmac_f16_e32 v26, -0.5, v32
	v_sub_f16_e32 v2, v2, v1
	v_fmac_f16_e32 v3, 0xbaee, v28
	v_fmamk_f16 v29, v21, 0xbaee, v11
	v_add_f16_e32 v44, v16, v75
	v_add_f16_e32 v20, v10, v20
	v_fmac_f16_e32 v10, -0.5, v46
	v_sub_f16_e32 v6, v6, v25
	v_fmamk_f16 v46, v43, 0x3aee, v4
	v_fmac_f16_e32 v4, 0xbaee, v43
	v_add_f16_e32 v8, v9, v8
	v_fmamk_f16 v9, v2, 0x3aee, v26
	v_fmac_f16_e32 v26, 0xbaee, v2
	v_mul_f16_e32 v2, 0xbaee, v24
	v_mul_f16_e32 v24, 0.5, v24
	v_fmac_f16_e32 v11, 0x3aee, v21
	v_mul_f16_e32 v21, 0xbaee, v3
	v_lshrrev_b32_e32 v45, 16, v0
	v_add_f16_e32 v65, v0, v16
	v_fmac_f16_e32 v0, -0.5, v44
	v_sub_f16_e32 v43, v5, v126
	v_fmamk_f16 v44, v6, 0xbaee, v10
	v_fmac_f16_e32 v10, 0x3aee, v6
	v_mul_f16_e32 v6, 0xbaee, v4
	v_fmac_f16_e32 v2, 0.5, v29
	v_fmac_f16_e32 v24, 0x3aee, v29
	v_add_f16_e32 v29, v5, v126
	v_fmamk_f16 v28, v42, 0xbaee, v35
	v_fmac_f16_e32 v35, 0x3aee, v42
	v_fmac_f16_e32 v21, -0.5, v11
	v_fmamk_f16 v42, v43, 0xbaee, v0
	v_fmac_f16_e32 v0, 0x3aee, v43
	v_fmac_f16_e32 v6, -0.5, v10
	v_mul_f16_e32 v3, -0.5, v3
	v_add_f16_e32 v5, v45, v5
	v_fmac_f16_e32 v45, -0.5, v29
	v_sub_f16_e32 v16, v16, v75
	v_add_f16_e32 v1, v38, v1
	v_add_f16_e32 v23, v23, v39
	;; [unrolled: 1-line block ×4, first 2 shown]
	v_sub_f16_e32 v19, v35, v21
	v_add_f16_e32 v21, v0, v6
	v_sub_f16_e32 v0, v0, v6
	v_sub_f16_e32 v6, v33, v30
	v_fmac_f16_e32 v3, 0x3aee, v11
	v_fmamk_f16 v29, v16, 0x3aee, v45
	v_fmac_f16_e32 v45, 0xbaee, v16
	v_mul_f16_e32 v16, 0xbaee, v46
	v_mul_f16_e32 v30, 0.5, v46
	v_mul_f16_e32 v4, -0.5, v4
	v_sub_f16_e32 v27, v34, v27
	v_sub_f16_e32 v22, v36, v22
	;; [unrolled: 1-line block ×3, first 2 shown]
	v_add_f16_e32 v11, v1, v23
	v_sub_f16_e32 v1, v1, v23
	v_add_f16_e32 v23, v28, v2
	v_sub_f16_e32 v2, v28, v2
	;; [unrolled: 2-line block ×5, first 2 shown]
	v_add_f16_e32 v26, v65, v75
	v_add_f16_e32 v5, v5, v126
	;; [unrolled: 1-line block ×4, first 2 shown]
	v_fmac_f16_e32 v16, 0.5, v44
	v_fmac_f16_e32 v30, 0x3aee, v44
	v_fmac_f16_e32 v4, 0x3aee, v10
	v_pack_b32_f16 v6, v6, v22
	v_pack_b32_f16 v18, v27, v18
	;; [unrolled: 1-line block ×4, first 2 shown]
	v_add_f16_e32 v10, v26, v20
	v_sub_f16_e32 v20, v26, v20
	v_add_f16_e32 v26, v42, v16
	v_add_f16_e32 v31, v5, v25
	;; [unrolled: 1-line block ×3, first 2 shown]
	v_sub_f16_e32 v5, v5, v25
	v_add_f16_e32 v25, v45, v4
	v_sub_f16_e32 v16, v42, v16
	v_sub_f16_e32 v23, v29, v30
	v_sub_f16_e32 v4, v45, v4
	ds_write2_b32 v139, v6, v18 offset0:144 offset1:244
	ds_write2_b32 v145, v11, v17 offset1:100
	v_pack_b32_f16 v6, v7, v24
	v_pack_b32_f16 v1, v1, v8
	;; [unrolled: 1-line block ×10, first 2 shown]
	ds_write2_b32 v142, v6, v1 offset0:72 offset1:172
	ds_write2_b32 v147, v2, v3 offset0:144 offset1:244
	ds_write2_b32 v151, v7, v8 offset1:100
	ds_write2_b32 v152, v9, v5 offset0:72 offset1:172
	ds_write2_b32 v153, v10, v0 offset0:144 offset1:244
	s_waitcnt lgkmcnt(0)
	s_barrier
	buffer_gl0_inv
	ds_read2_b32 v[0:1], v102 offset0:96 offset1:216
	ds_read2_b32 v[2:3], v99 offset0:48 offset1:168
	;; [unrolled: 1-line block ×10, first 2 shown]
	s_waitcnt lgkmcnt(9)
	v_lshrrev_b32_e32 v10, 16, v1
	v_mul_f16_sdwa v25, v48, v1 dst_sel:DWORD dst_unused:UNUSED_PAD src0_sel:WORD_1 src1_sel:DWORD
	s_waitcnt lgkmcnt(7)
	v_lshrrev_b32_e32 v18, 16, v23
	s_waitcnt lgkmcnt(6)
	v_lshrrev_b32_e32 v36, 16, v5
	v_lshrrev_b32_e32 v11, 16, v2
	v_mul_f16_sdwa v24, v48, v10 dst_sel:DWORD dst_unused:UNUSED_PAD src0_sel:WORD_1 src1_sel:DWORD
	v_lshrrev_b32_e32 v19, 16, v4
	s_waitcnt lgkmcnt(5)
	v_lshrrev_b32_e32 v20, 16, v6
	v_lshrrev_b32_e32 v21, 16, v3
	v_mul_f16_sdwa v27, v49, v2 dst_sel:DWORD dst_unused:UNUSED_PAD src0_sel:WORD_1 src1_sel:DWORD
	v_fmac_f16_e32 v24, v48, v1
	v_mul_f16_sdwa v1, v50, v23 dst_sel:DWORD dst_unused:UNUSED_PAD src0_sel:WORD_1 src1_sel:DWORD
	v_fma_f16 v26, v48, v10, -v25
	v_mul_f16_sdwa v10, v51, v4 dst_sel:DWORD dst_unused:UNUSED_PAD src0_sel:WORD_1 src1_sel:DWORD
	v_mul_f16_sdwa v29, v55, v36 dst_sel:DWORD dst_unused:UNUSED_PAD src0_sel:WORD_1 src1_sel:DWORD
	s_waitcnt lgkmcnt(4)
	v_lshrrev_b32_e32 v28, 16, v8
	v_fma_f16 v32, v50, v18, -v1
	v_mul_f16_sdwa v1, v52, v6 dst_sel:DWORD dst_unused:UNUSED_PAD src0_sel:WORD_1 src1_sel:DWORD
	v_lshrrev_b32_e32 v40, 16, v7
	s_waitcnt lgkmcnt(3)
	v_lshrrev_b32_e32 v47, 16, v16
	v_mul_f16_sdwa v33, v49, v11 dst_sel:DWORD dst_unused:UNUSED_PAD src0_sel:WORD_1 src1_sel:DWORD
	v_fma_f16 v35, v49, v11, -v27
	v_mul_f16_sdwa v31, v50, v18 dst_sel:DWORD dst_unused:UNUSED_PAD src0_sel:WORD_1 src1_sel:DWORD
	v_fma_f16 v34, v51, v19, -v10
	v_mul_f16_sdwa v27, v53, v21 dst_sel:DWORD dst_unused:UNUSED_PAD src0_sel:WORD_1 src1_sel:DWORD
	v_mul_f16_sdwa v10, v54, v8 dst_sel:DWORD dst_unused:UNUSED_PAD src0_sel:WORD_1 src1_sel:DWORD
	v_fma_f16 v25, v52, v20, -v1
	v_mul_f16_sdwa v1, v55, v5 dst_sel:DWORD dst_unused:UNUSED_PAD src0_sel:WORD_1 src1_sel:DWORD
	v_fmac_f16_e32 v29, v55, v5
	v_mul_f16_sdwa v5, v61, v16 dst_sel:DWORD dst_unused:UNUSED_PAD src0_sel:WORD_1 src1_sel:DWORD
	v_mul_f16_sdwa v37, v51, v19 dst_sel:DWORD dst_unused:UNUSED_PAD src0_sel:WORD_1 src1_sel:DWORD
	v_fmac_f16_e32 v33, v49, v2
	v_fmac_f16_e32 v31, v50, v23
	v_lshrrev_b32_e32 v2, 16, v9
	v_fmac_f16_e32 v27, v53, v3
	v_mul_f16_sdwa v3, v53, v3 dst_sel:DWORD dst_unused:UNUSED_PAD src0_sel:WORD_1 src1_sel:DWORD
	v_mul_f16_sdwa v23, v52, v20 dst_sel:DWORD dst_unused:UNUSED_PAD src0_sel:WORD_1 src1_sel:DWORD
	v_fma_f16 v41, v54, v28, -v10
	v_mul_f16_sdwa v42, v54, v28 dst_sel:DWORD dst_unused:UNUSED_PAD src0_sel:WORD_1 src1_sel:DWORD
	v_fma_f16 v28, v55, v36, -v1
	;; [unrolled: 2-line block ×3, first 2 shown]
	v_mul_f16_sdwa v5, v62, v9 dst_sel:DWORD dst_unused:UNUSED_PAD src0_sel:WORD_1 src1_sel:DWORD
	v_fmac_f16_e32 v37, v51, v4
	s_waitcnt lgkmcnt(2)
	v_lshrrev_b32_e32 v4, 16, v38
	v_fma_f16 v30, v53, v21, -v3
	v_fmac_f16_e32 v23, v52, v6
	v_mul_f16_sdwa v3, v60, v7 dst_sel:DWORD dst_unused:UNUSED_PAD src0_sel:WORD_1 src1_sel:DWORD
	v_fmac_f16_e32 v1, v60, v7
	v_lshrrev_b32_e32 v11, 16, v17
	v_mul_f16_sdwa v7, v62, v2 dst_sel:DWORD dst_unused:UNUSED_PAD src0_sel:WORD_1 src1_sel:DWORD
	v_mul_f16_sdwa v19, v61, v47 dst_sel:DWORD dst_unused:UNUSED_PAD src0_sel:WORD_1 src1_sel:DWORD
	;; [unrolled: 1-line block ×3, first 2 shown]
	v_fma_f16 v10, v62, v2, -v5
	v_lshrrev_b32_e32 v2, 16, v39
	v_mul_f16_sdwa v21, v63, v4 dst_sel:DWORD dst_unused:UNUSED_PAD src0_sel:WORD_1 src1_sel:DWORD
	v_fmac_f16_e32 v19, v61, v16
	v_fma_f16 v20, v63, v4, -v6
	v_mul_f16_sdwa v4, v57, v11 dst_sel:DWORD dst_unused:UNUSED_PAD src0_sel:WORD_1 src1_sel:DWORD
	v_mul_f16_sdwa v5, v59, v2 dst_sel:DWORD dst_unused:UNUSED_PAD src0_sel:WORD_1 src1_sel:DWORD
	;; [unrolled: 1-line block ×4, first 2 shown]
	v_fmac_f16_e32 v42, v54, v8
	v_fma_f16 v3, v60, v40, -v3
	s_waitcnt lgkmcnt(1)
	v_lshrrev_b32_e32 v6, 16, v43
	v_mul_f16_sdwa v8, v56, v43 dst_sel:DWORD dst_unused:UNUSED_PAD src0_sel:WORD_1 src1_sel:DWORD
	v_fmac_f16_e32 v4, v57, v17
	v_lshrrev_b32_e32 v49, 16, v44
	v_fmac_f16_e32 v5, v59, v39
	ds_read2_b32 v[39:40], v107 offset0:64 offset1:184
	v_fma_f16 v17, v57, v11, -v16
	v_fma_f16 v16, v59, v2, -v47
	ds_read2_b32 v[47:48], v112 offset0:48 offset1:168
	v_fmac_f16_e32 v7, v62, v9
	s_waitcnt lgkmcnt(2)
	v_lshrrev_b32_e32 v9, 16, v45
	v_mul_f16_sdwa v36, v58, v45 dst_sel:DWORD dst_unused:UNUSED_PAD src0_sel:WORD_1 src1_sel:DWORD
	v_fma_f16 v8, v56, v6, -v8
	v_mul_f16_sdwa v6, v56, v6 dst_sel:DWORD dst_unused:UNUSED_PAD src0_sel:WORD_1 src1_sel:DWORD
	v_mul_f16_sdwa v2, v12, v49 dst_sel:DWORD dst_unused:UNUSED_PAD src0_sel:WORD_1 src1_sel:DWORD
	v_lshrrev_b32_e32 v51, 16, v46
	v_fmac_f16_e32 v21, v63, v38
	v_mul_f16_sdwa v38, v58, v9 dst_sel:DWORD dst_unused:UNUSED_PAD src0_sel:WORD_1 src1_sel:DWORD
	v_fma_f16 v36, v58, v9, -v36
	v_fmac_f16_e32 v6, v56, v43
	v_mul_f16_sdwa v9, v12, v44 dst_sel:DWORD dst_unused:UNUSED_PAD src0_sel:WORD_1 src1_sel:DWORD
	v_fmac_f16_e32 v2, v12, v44
	v_mul_f16_sdwa v52, v14, v51 dst_sel:DWORD dst_unused:UNUSED_PAD src0_sel:WORD_1 src1_sel:DWORD
	ds_read2_b32 v[43:44], v90 offset0:32 offset1:152
	v_lshrrev_b32_e32 v50, 16, v22
	v_fmac_f16_e32 v38, v58, v45
	s_waitcnt lgkmcnt(2)
	v_lshrrev_b32_e32 v45, 16, v39
	v_fmac_f16_e32 v52, v14, v46
	v_mul_f16_sdwa v46, v14, v46 dst_sel:DWORD dst_unused:UNUSED_PAD src0_sel:WORD_1 src1_sel:DWORD
	v_mul_f16_sdwa v11, v13, v50 dst_sel:DWORD dst_unused:UNUSED_PAD src0_sel:WORD_1 src1_sel:DWORD
	v_fma_f16 v9, v12, v49, -v9
	v_mul_f16_sdwa v49, v15, v39 dst_sel:DWORD dst_unused:UNUSED_PAD src0_sel:WORD_1 src1_sel:DWORD
	v_mul_f16_sdwa v12, v15, v45 dst_sel:DWORD dst_unused:UNUSED_PAD src0_sel:WORD_1 src1_sel:DWORD
	v_fma_f16 v46, v14, v51, -v46
	s_waitcnt lgkmcnt(1)
	v_lshrrev_b32_e32 v14, 16, v47
	v_fmac_f16_e32 v11, v13, v22
	v_mul_f16_sdwa v22, v13, v22 dst_sel:DWORD dst_unused:UNUSED_PAD src0_sel:WORD_1 src1_sel:DWORD
	v_fmac_f16_e32 v12, v15, v39
	v_mul_f16_sdwa v51, v159, v47 dst_sel:DWORD dst_unused:UNUSED_PAD src0_sel:WORD_1 src1_sel:DWORD
	v_mul_f16_sdwa v53, v159, v14 dst_sel:DWORD dst_unused:UNUSED_PAD src0_sel:WORD_1 src1_sel:DWORD
	v_add_f16_e32 v57, v0, v11
	v_fma_f16 v22, v13, v50, -v22
	v_lshrrev_b32_e32 v50, 16, v40
	v_fma_f16 v13, v15, v45, -v49
	v_mul_f16_sdwa v15, v157, v40 dst_sel:DWORD dst_unused:UNUSED_PAD src0_sel:WORD_1 src1_sel:DWORD
	v_fmac_f16_e32 v53, v159, v47
	s_waitcnt lgkmcnt(0)
	v_lshrrev_b32_e32 v47, 16, v44
	v_mul_f16_sdwa v49, v157, v50 dst_sel:DWORD dst_unused:UNUSED_PAD src0_sel:WORD_1 src1_sel:DWORD
	v_lshrrev_b32_e32 v45, 16, v48
	v_fma_f16 v50, v157, v50, -v15
	v_fma_f16 v51, v159, v14, -v51
	v_mul_f16_sdwa v15, v160, v48 dst_sel:DWORD dst_unused:UNUSED_PAD src0_sel:WORD_1 src1_sel:DWORD
	v_mul_f16_sdwa v54, v133, v44 dst_sel:DWORD dst_unused:UNUSED_PAD src0_sel:WORD_1 src1_sel:DWORD
	;; [unrolled: 1-line block ×3, first 2 shown]
	v_fmac_f16_e32 v49, v157, v40
	v_mul_f16_sdwa v39, v160, v45 dst_sel:DWORD dst_unused:UNUSED_PAD src0_sel:WORD_1 src1_sel:DWORD
	v_fma_f16 v40, v160, v45, -v15
	v_fma_f16 v47, v133, v47, -v54
	v_fmac_f16_e32 v14, v133, v44
	ds_read2_b32 v[44:45], v118 offset1:120
	v_fmac_f16_e32 v39, v160, v48
	v_lshrrev_b32_e32 v48, 16, v43
	v_mul_f16_sdwa v55, v154, v43 dst_sel:DWORD dst_unused:UNUSED_PAD src0_sel:WORD_1 src1_sel:DWORD
	v_add_f16_e32 v54, v11, v12
	v_add_f16_e32 v56, v46, v47
	;; [unrolled: 1-line block ×3, first 2 shown]
	v_mul_f16_sdwa v15, v154, v48 dst_sel:DWORD dst_unused:UNUSED_PAD src0_sel:WORD_1 src1_sel:DWORD
	v_fma_f16 v48, v154, v48, -v55
	v_lshrrev_b32_e32 v55, 16, v0
	v_fmac_f16_e32 v0, -0.5, v54
	v_add_f16_e32 v54, v52, v14
	v_add_f16_e32 v58, v9, v46
	v_fmac_f16_e32 v9, -0.5, v56
	v_sub_f16_e32 v56, v52, v14
	v_add_f16_e32 v63, v42, v53
	v_add_f16_e32 v65, v25, v41
	v_fmac_f16_e32 v25, -0.5, v60
	v_sub_f16_e32 v60, v42, v53
	v_sub_f16_e32 v59, v22, v13
	v_add_f16_e32 v52, v2, v52
	v_fmac_f16_e32 v2, -0.5, v54
	v_sub_f16_e32 v46, v46, v47
	v_fmamk_f16 v54, v56, 0x3aee, v9
	v_fmac_f16_e32 v9, 0xbaee, v56
	v_add_f16_e32 v61, v27, v29
	v_add_f16_e32 v42, v23, v42
	v_fmac_f16_e32 v23, -0.5, v63
	v_sub_f16_e32 v41, v41, v51
	v_fmamk_f16 v63, v60, 0x3aee, v25
	v_fmac_f16_e32 v25, 0xbaee, v60
	v_fmamk_f16 v56, v59, 0xbaee, v0
	v_fmac_f16_e32 v0, 0x3aee, v59
	;; [unrolled: 2-line block ×3, first 2 shown]
	v_mul_f16_e32 v46, 0xbaee, v9
	s_waitcnt lgkmcnt(0)
	v_lshrrev_b32_e32 v62, 16, v45
	v_add_f16_e32 v66, v45, v27
	v_fmac_f16_e32 v45, -0.5, v61
	v_sub_f16_e32 v60, v30, v28
	v_fmamk_f16 v61, v41, 0xbaee, v23
	v_fmac_f16_e32 v23, 0x3aee, v41
	v_mul_f16_e32 v41, 0xbaee, v25
	v_fmac_f16_e32 v46, -0.5, v2
	v_fmamk_f16 v67, v60, 0xbaee, v45
	v_fmac_f16_e32 v45, 0x3aee, v60
	v_add_f16_e32 v60, v33, v37
	v_fmac_f16_e32 v41, -0.5, v23
	v_fmac_f16_e32 v15, v154, v43
	v_add_f16_e32 v43, v0, v46
	v_sub_f16_e32 v0, v0, v46
	v_fma_f16 v46, -0.5, v60, v44
	v_add_f16_e32 v60, v45, v41
	v_lshrrev_b32_e32 v68, 16, v44
	v_add_f16_e32 v44, v44, v33
	v_sub_f16_e32 v41, v45, v41
	v_sub_f16_e32 v45, v35, v34
	v_add_f16_e32 v69, v35, v34
	v_sub_f16_e32 v33, v33, v37
	v_add_f16_e32 v44, v44, v37
	v_add_f16_e32 v35, v68, v35
	v_fmamk_f16 v37, v45, 0xbaee, v46
	v_fmac_f16_e32 v46, 0x3aee, v45
	v_add_f16_e32 v45, v32, v50
	v_fmac_f16_e32 v68, -0.5, v69
	v_add_f16_e32 v69, v31, v49
	v_add_f16_e32 v70, v26, v32
	;; [unrolled: 1-line block ×3, first 2 shown]
	v_fmac_f16_e32 v26, -0.5, v45
	v_sub_f16_e32 v45, v31, v49
	v_fmamk_f16 v35, v33, 0x3aee, v68
	v_add_f16_e32 v31, v24, v31
	v_fmac_f16_e32 v24, -0.5, v69
	v_sub_f16_e32 v32, v32, v50
	v_fmac_f16_e32 v68, 0xbaee, v33
	v_fmamk_f16 v33, v45, 0x3aee, v26
	v_fmac_f16_e32 v26, 0xbaee, v45
	v_add_f16_e32 v31, v31, v49
	v_fmamk_f16 v45, v32, 0xbaee, v24
	v_fmac_f16_e32 v24, 0x3aee, v32
	v_mul_f16_e32 v32, 0xbaee, v33
	v_mul_f16_e32 v49, 0xbaee, v26
	v_mul_f16_e32 v33, 0.5, v33
	v_mul_f16_e32 v26, -0.5, v26
	v_add_f16_e32 v50, v70, v50
	v_fmac_f16_e32 v32, 0.5, v45
	v_fmac_f16_e32 v49, -0.5, v24
	v_fmac_f16_e32 v33, 0x3aee, v45
	v_fmac_f16_e32 v26, 0x3aee, v24
	v_add_f16_e32 v24, v44, v31
	v_sub_f16_e32 v31, v44, v31
	v_add_f16_e32 v44, v37, v32
	v_sub_f16_e32 v32, v37, v32
	;; [unrolled: 2-line block ×3, first 2 shown]
	v_add_f16_e32 v49, v30, v28
	v_add_f16_e32 v30, v62, v30
	;; [unrolled: 1-line block ×3, first 2 shown]
	v_sub_f16_e32 v34, v34, v50
	v_add_f16_e32 v50, v35, v33
	v_fmac_f16_e32 v62, -0.5, v49
	v_sub_f16_e32 v49, v27, v29
	v_sub_f16_e32 v33, v35, v33
	v_add_f16_e32 v35, v68, v26
	v_sub_f16_e32 v68, v68, v26
	ds_read2_b32 v[26:27], v123 offset0:112 offset1:232
	v_add_f16_e32 v28, v30, v28
	v_fmamk_f16 v30, v49, 0x3aee, v62
	v_fmac_f16_e32 v62, 0xbaee, v49
	v_mul_f16_e32 v49, 0xbaee, v63
	v_add_f16_e32 v51, v65, v51
	v_add_f16_e32 v29, v66, v29
	v_mul_f16_e32 v25, -0.5, v25
	v_add_f16_e32 v42, v42, v53
	v_fmac_f16_e32 v49, 0.5, v61
	v_add_f16_e32 v53, v28, v51
	v_sub_f16_e32 v28, v28, v51
	v_add_f16_e32 v51, v36, v48
	v_mul_f16_e32 v63, 0.5, v63
	v_fmac_f16_e32 v25, 0x3aee, v23
	v_add_f16_e32 v23, v29, v42
	v_sub_f16_e32 v29, v29, v42
	v_add_f16_e32 v42, v67, v49
	v_sub_f16_e32 v49, v67, v49
	v_add_f16_e32 v66, v38, v15
	v_add_f16_e32 v67, v8, v36
	v_fmac_f16_e32 v8, -0.5, v51
	v_sub_f16_e32 v51, v38, v15
	v_fmac_f16_e32 v63, 0x3aee, v61
	v_add_f16_e32 v61, v4, v5
	v_add_f16_e32 v38, v6, v38
	v_fmac_f16_e32 v6, -0.5, v66
	v_sub_f16_e32 v36, v36, v48
	v_fmamk_f16 v66, v51, 0x3aee, v8
	v_fmac_f16_e32 v8, 0xbaee, v51
	s_waitcnt lgkmcnt(0)
	v_lshrrev_b32_e32 v65, 16, v27
	v_add_f16_e32 v69, v27, v4
	v_fmac_f16_e32 v27, -0.5, v61
	v_sub_f16_e32 v51, v17, v16
	v_fmamk_f16 v61, v36, 0xbaee, v6
	v_fmac_f16_e32 v6, 0x3aee, v36
	v_mul_f16_e32 v36, 0xbaee, v8
	v_add_f16_e32 v70, v30, v63
	v_fmamk_f16 v71, v51, 0xbaee, v27
	v_fmac_f16_e32 v27, 0x3aee, v51
	v_add_f16_e32 v51, v19, v21
	v_fmac_f16_e32 v36, -0.5, v6
	v_sub_f16_e32 v30, v30, v63
	v_add_f16_e32 v63, v62, v25
	v_sub_f16_e32 v25, v62, v25
	v_fma_f16 v51, -0.5, v51, v26
	v_add_f16_e32 v62, v27, v36
	v_lshrrev_b32_e32 v72, 16, v26
	v_add_f16_e32 v26, v26, v19
	v_sub_f16_e32 v27, v27, v36
	v_sub_f16_e32 v36, v18, v20
	v_add_f16_e32 v73, v18, v20
	v_sub_f16_e32 v19, v19, v21
	v_add_f16_e32 v26, v26, v21
	v_add_f16_e32 v18, v72, v18
	v_fmamk_f16 v21, v36, 0xbaee, v51
	v_fmac_f16_e32 v51, 0x3aee, v36
	v_add_f16_e32 v36, v10, v40
	v_fmac_f16_e32 v72, -0.5, v73
	v_add_f16_e32 v73, v7, v39
	v_add_f16_e32 v74, v3, v10
	;; [unrolled: 1-line block ×3, first 2 shown]
	v_fmac_f16_e32 v3, -0.5, v36
	v_sub_f16_e32 v36, v7, v39
	v_fmamk_f16 v20, v19, 0x3aee, v72
	v_add_f16_e32 v7, v1, v7
	v_fmac_f16_e32 v1, -0.5, v73
	v_sub_f16_e32 v10, v10, v40
	v_fmac_f16_e32 v72, 0xbaee, v19
	v_fmamk_f16 v19, v36, 0x3aee, v3
	v_fmac_f16_e32 v3, 0xbaee, v36
	v_add_f16_e32 v7, v7, v39
	v_fmamk_f16 v36, v10, 0xbaee, v1
	v_fmac_f16_e32 v1, 0x3aee, v10
	v_mul_f16_e32 v10, 0xbaee, v19
	v_mul_f16_e32 v39, 0xbaee, v3
	v_mul_f16_e32 v19, 0.5, v19
	v_mul_f16_e32 v3, -0.5, v3
	v_sub_f16_e32 v4, v4, v5
	v_fmac_f16_e32 v10, 0.5, v36
	v_fmac_f16_e32 v39, -0.5, v1
	v_fmac_f16_e32 v19, 0x3aee, v36
	v_fmac_f16_e32 v3, 0x3aee, v1
	v_add_f16_e32 v1, v26, v7
	v_sub_f16_e32 v7, v26, v7
	v_add_f16_e32 v26, v21, v10
	v_sub_f16_e32 v10, v21, v10
	v_add_f16_e32 v21, v51, v39
	v_sub_f16_e32 v36, v51, v39
	v_add_f16_e32 v51, v17, v16
	v_add_f16_e32 v17, v65, v17
	;; [unrolled: 1-line block ×3, first 2 shown]
	v_mul_f16_e32 v8, -0.5, v8
	v_sub_f16_e32 v11, v11, v12
	v_fmac_f16_e32 v65, -0.5, v51
	v_add_f16_e32 v16, v17, v16
	v_mul_f16_e32 v51, 0.5, v66
	v_add_f16_e32 v5, v69, v5
	v_add_f16_e32 v15, v38, v15
	v_fmamk_f16 v17, v4, 0x3aee, v65
	v_fmac_f16_e32 v65, 0xbaee, v4
	v_mul_f16_e32 v4, 0xbaee, v66
	v_fmac_f16_e32 v51, 0x3aee, v61
	v_add_f16_e32 v38, v67, v48
	v_add_f16_e32 v39, v18, v40
	v_sub_f16_e32 v18, v18, v40
	v_fmac_f16_e32 v4, 0.5, v61
	v_add_f16_e32 v61, v22, v13
	v_add_f16_e32 v22, v55, v22
	;; [unrolled: 1-line block ×3, first 2 shown]
	v_sub_f16_e32 v19, v20, v19
	v_add_f16_e32 v20, v72, v3
	v_fmac_f16_e32 v55, -0.5, v61
	v_fmac_f16_e32 v8, 0x3aee, v6
	v_add_f16_e32 v13, v22, v13
	v_pack_b32_f16 v44, v44, v50
	v_pack_b32_f16 v35, v37, v35
	v_fmamk_f16 v22, v11, 0x3aee, v55
	v_fmac_f16_e32 v55, 0xbaee, v11
	v_mul_f16_e32 v11, 0xbaee, v54
	v_mul_f16_e32 v54, 0.5, v54
	v_pack_b32_f16 v31, v31, v34
	v_pack_b32_f16 v32, v32, v33
	;; [unrolled: 1-line block ×4, first 2 shown]
	v_sub_f16_e32 v3, v72, v3
	v_mul_f16_e32 v9, -0.5, v9
	v_pack_b32_f16 v24, v24, v46
	v_pack_b32_f16 v23, v23, v53
	v_add_f16_e32 v6, v5, v15
	v_add_f16_e32 v48, v16, v38
	;; [unrolled: 1-line block ×5, first 2 shown]
	v_sub_f16_e32 v16, v16, v38
	v_add_f16_e32 v38, v17, v51
	v_sub_f16_e32 v17, v17, v51
	v_add_f16_e32 v51, v65, v8
	v_fmac_f16_e32 v11, 0.5, v59
	v_fmac_f16_e32 v54, 0x3aee, v59
	ds_write_b32 v118, v44 offset:2400
	ds_write_b32 v118, v35 offset:4800
	;; [unrolled: 1-line block ×5, first 2 shown]
	ds_write2_b32 v118, v24, v23 offset1:120
	v_pack_b32_f16 v23, v42, v70
	v_pack_b32_f16 v24, v60, v63
	ds_write_b32 v118, v28 offset:7680
	v_pack_b32_f16 v26, v26, v40
	v_pack_b32_f16 v28, v49, v30
	;; [unrolled: 1-line block ×4, first 2 shown]
	v_sub_f16_e32 v5, v5, v15
	v_fmac_f16_e32 v9, 0x3aee, v2
	v_pack_b32_f16 v25, v41, v25
	v_pack_b32_f16 v3, v36, v3
	v_add_f16_e32 v15, v71, v4
	v_sub_f16_e32 v4, v71, v4
	v_pack_b32_f16 v1, v1, v39
	v_pack_b32_f16 v6, v6, v48
	v_sub_f16_e32 v8, v65, v8
	v_add_f16_e32 v2, v12, v14
	v_add_f16_e32 v52, v13, v47
	v_sub_f16_e32 v12, v12, v14
	v_add_f16_e32 v14, v56, v11
	v_sub_f16_e32 v13, v13, v47
	v_add_f16_e32 v47, v22, v54
	ds_write2_b32 v121, v23, v26 offset0:80 offset1:200
	ds_write2_b32 v155, v24, v20 offset0:40 offset1:160
	;; [unrolled: 1-line block ×5, first 2 shown]
	v_pack_b32_f16 v3, v62, v51
	v_add_f16_e32 v50, v55, v9
	v_pack_b32_f16 v7, v7, v18
	v_pack_b32_f16 v5, v5, v16
	;; [unrolled: 1-line block ×3, first 2 shown]
	v_sub_f16_e32 v11, v56, v11
	v_sub_f16_e32 v22, v22, v54
	v_pack_b32_f16 v6, v27, v8
	v_sub_f16_e32 v9, v55, v9
	v_pack_b32_f16 v2, v2, v52
	v_pack_b32_f16 v1, v15, v38
	ds_write_b32 v118, v3 offset:6240
	ds_write2_b32 v158, v7, v5 offset0:120 offset1:240
	ds_write_b32 v118, v4 offset:11040
	ds_write_b32 v118, v6 offset:13440
	;; [unrolled: 1-line block ×3, first 2 shown]
	v_pack_b32_f16 v2, v14, v47
	v_pack_b32_f16 v3, v43, v50
	;; [unrolled: 1-line block ×5, first 2 shown]
	ds_write2_b32 v122, v1, v2 offset0:64 offset1:184
	ds_write_b32 v118, v3 offset:6720
	ds_write_b32 v118, v4 offset:9120
	;; [unrolled: 1-line block ×4, first 2 shown]
	s_waitcnt lgkmcnt(0)
	s_barrier
	buffer_gl0_inv
	ds_read2_b32 v[11:12], v118 offset1:120
	ds_read2_b32 v[6:7], v123 offset0:112 offset1:232
	s_waitcnt lgkmcnt(1)
	v_lshrrev_b32_e32 v2, 16, v11
	v_mul_f16_sdwa v3, v120, v11 dst_sel:DWORD dst_unused:UNUSED_PAD src0_sel:WORD_1 src1_sel:DWORD
	s_waitcnt lgkmcnt(0)
	v_lshrrev_b32_e32 v9, 16, v7
	v_mul_f16_sdwa v0, v120, v2 dst_sel:DWORD dst_unused:UNUSED_PAD src0_sel:WORD_1 src1_sel:DWORD
	v_fma_f16 v2, v120, v2, -v3
	v_mul_f16_sdwa v13, v119, v9 dst_sel:DWORD dst_unused:UNUSED_PAD src0_sel:WORD_1 src1_sel:DWORD
	v_fmac_f16_e32 v0, v120, v11
	v_cvt_f32_f16_e32 v2, v2
	v_fmac_f16_e32 v13, v119, v7
	v_mul_f16_sdwa v7, v119, v7 dst_sel:DWORD dst_unused:UNUSED_PAD src0_sel:WORD_1 src1_sel:DWORD
	v_cvt_f32_f16_e32 v0, v0
	v_cvt_f64_f32_e32 v[2:3], v2
	v_cvt_f32_f16_e32 v13, v13
	v_fma_f16 v7, v119, v9, -v7
	v_cvt_f64_f32_e32 v[0:1], v0
	v_mul_f64 v[2:3], v[2:3], s[2:3]
	v_mul_f64 v[0:1], v[0:1], s[2:3]
	v_and_or_b32 v2, 0x1ff, v3, v2
	v_lshrrev_b32_e32 v10, 8, v3
	v_bfe_u32 v11, v3, 20, 11
	v_and_or_b32 v0, 0x1ff, v1, v0
	v_lshrrev_b32_e32 v4, 8, v1
	v_bfe_u32 v5, v1, 20, 11
	v_lshrrev_b32_e32 v18, 16, v1
	v_cmp_ne_u32_e32 vcc_lo, 0, v0
	v_add_nc_u32_e32 v16, 0xfffffc10, v5
	v_cndmask_b32_e64 v0, 0, 1, vcc_lo
	v_cmp_ne_u32_e32 vcc_lo, 0, v2
	v_and_or_b32 v0, 0xffe, v4, v0
	v_sub_nc_u32_e32 v4, 0x3f1, v5
	v_cndmask_b32_e64 v2, 0, 1, vcc_lo
	v_or_b32_e32 v8, 0x1000, v0
	v_med3_i32 v4, v4, 0, 13
	v_and_or_b32 v2, 0xffe, v10, v2
	v_sub_nc_u32_e32 v10, 0x3f1, v11
	v_lshrrev_b32_e32 v14, v4, v8
	v_or_b32_e32 v15, 0x1000, v2
	v_med3_i32 v10, v10, 0, 13
	v_lshlrev_b32_e32 v4, v4, v14
	v_lshrrev_b32_e32 v17, v10, v15
	v_cmp_ne_u32_e32 vcc_lo, v4, v8
	v_cvt_f64_f32_e32 v[4:5], v13
	v_lshl_or_b32 v13, v16, 12, v0
	v_lshlrev_b32_e32 v10, v10, v17
	v_cndmask_b32_e64 v8, 0, 1, vcc_lo
	v_cmp_gt_i32_e32 vcc_lo, 1, v16
	v_or_b32_e32 v8, v14, v8
	v_cndmask_b32_e32 v8, v13, v8, vcc_lo
	v_cmp_ne_u32_e32 vcc_lo, v10, v15
	v_add_nc_u32_e32 v13, 0xfffffc10, v11
	v_and_b32_e32 v11, 7, v8
	v_cndmask_b32_e64 v10, 0, 1, vcc_lo
	v_lshrrev_b32_e32 v14, 2, v8
	v_cmp_gt_i32_e64 s1, 1, v13
	v_cmp_lt_i32_e32 vcc_lo, 5, v11
	v_cmp_eq_u32_e64 s0, 3, v11
	v_cvt_f32_f16_e32 v11, v7
	v_or_b32_e32 v9, v17, v10
	v_lshl_or_b32 v10, v13, 12, v2
	v_mul_f64 v[7:8], v[4:5], s[2:3]
	s_or_b32 vcc_lo, s0, vcc_lo
	v_cvt_f64_f32_e32 v[4:5], v11
	v_add_co_ci_u32_e32 v11, vcc_lo, 0, v14, vcc_lo
	v_cndmask_b32_e64 v15, v10, v9, s1
	v_cmp_ne_u32_e32 vcc_lo, 0, v0
	v_mad_u64_u32 v[9:10], null, s10, v64, 0
	v_cmp_eq_u32_e64 s1, 0x40f, v16
	v_and_b32_e32 v14, 7, v15
	v_cndmask_b32_e64 v0, 0, 1, vcc_lo
	v_cmp_gt_i32_e32 vcc_lo, 31, v16
	v_cmp_eq_u32_e64 s0, 3, v14
	v_lshl_or_b32 v17, v0, 9, 0x7c00
	v_cndmask_b32_e32 v11, 0x7c00, v11, vcc_lo
	v_cmp_lt_i32_e32 vcc_lo, 5, v14
	v_mov_b32_e32 v0, v10
	v_lshrrev_b32_e32 v10, 2, v15
	ds_read2_b32 v[14:15], v121 offset0:80 offset1:200
	v_cndmask_b32_e64 v16, v11, v17, s1
	s_or_b32 vcc_lo, s0, vcc_lo
	v_and_or_b32 v7, 0x1ff, v8, v7
	v_add_co_ci_u32_e32 v17, vcc_lo, 0, v10, vcc_lo
	v_cmp_ne_u32_e32 vcc_lo, 0, v2
	v_mul_f64 v[10:11], v[4:5], s[2:3]
	v_bfe_u32 v19, v8, 20, 11
	v_mad_u64_u32 v[1:2], null, s8, v113, 0
	v_cndmask_b32_e64 v4, 0, 1, vcc_lo
	v_cmp_gt_i32_e32 vcc_lo, 31, v13
	v_sub_nc_u32_e32 v21, 0x3f1, v19
	v_add_nc_u32_e32 v19, 0xfffffc10, v19
	v_lshl_or_b32 v20, v4, 9, 0x7c00
	v_cndmask_b32_e32 v17, 0x7c00, v17, vcc_lo
	v_cmp_ne_u32_e32 vcc_lo, 0, v7
	v_lshrrev_b32_e32 v7, 8, v8
	v_lshrrev_b32_e32 v8, 16, v8
	v_cndmask_b32_e64 v5, 0, 1, vcc_lo
	v_cmp_eq_u32_e32 vcc_lo, 0x40f, v13
	v_and_or_b32 v7, 0xffe, v7, v5
	v_mad_u64_u32 v[4:5], null, s11, v64, v[0:1]
	v_and_or_b32 v5, 0x8000, v18, v16
	v_cndmask_b32_e32 v13, v17, v20, vcc_lo
	v_med3_i32 v17, v21, 0, 13
	v_and_or_b32 v18, 0x1ff, v11, v10
	v_mov_b32_e32 v0, v2
	s_waitcnt lgkmcnt(0)
	v_lshrrev_b32_e32 v21, 16, v14
	v_or_b32_e32 v16, 0x1000, v7
	v_lshrrev_b32_e32 v20, 16, v3
	v_cmp_ne_u32_e32 vcc_lo, 0, v18
	v_mad_u64_u32 v[2:3], null, s9, v113, v[0:1]
	v_mul_f16_sdwa v0, v115, v21 dst_sel:DWORD dst_unused:UNUSED_PAD src0_sel:WORD_1 src1_sel:DWORD
	v_lshrrev_b32_e32 v22, v17, v16
	v_mov_b32_e32 v10, v4
	v_cndmask_b32_e64 v3, 0, 1, vcc_lo
	v_lshrrev_b32_e32 v4, 8, v11
	v_bfe_u32 v23, v11, 20, 11
	v_fmac_f16_e32 v0, v115, v14
	v_lshlrev_b32_e32 v17, v17, v22
	v_and_or_b32 v13, 0x8000, v20, v13
	v_and_or_b32 v20, 0xffe, v4, v3
	v_sub_nc_u32_e32 v3, 0x3f1, v23
	v_cvt_f32_f16_e32 v0, v0
	v_cmp_ne_u32_e32 vcc_lo, v17, v16
	v_and_b32_e32 v5, 0xffff, v5
	v_or_b32_e32 v24, 0x1000, v20
	v_med3_i32 v17, v3, 0, 13
	v_cvt_f64_f32_e32 v[3:4], v0
	v_cndmask_b32_e64 v16, 0, 1, vcc_lo
	v_cmp_gt_i32_e32 vcc_lo, 1, v19
	v_lshlrev_b64 v[9:10], 2, v[9:10]
	v_lshl_or_b32 v13, v13, 16, v5
	v_lshrrev_b32_e32 v11, 16, v11
	v_or_b32_e32 v0, v22, v16
	v_lshl_or_b32 v16, v19, 12, v7
	v_lshrrev_b32_e32 v22, v17, v24
	v_cndmask_b32_e32 v16, v16, v0, vcc_lo
	v_lshlrev_b32_e32 v5, v17, v22
	v_lshlrev_b64 v[0:1], 2, v[1:2]
	v_mul_f16_sdwa v2, v115, v14 dst_sel:DWORD dst_unused:UNUSED_PAD src0_sel:WORD_1 src1_sel:DWORD
	v_add_co_u32 v18, vcc_lo, s4, v9
	v_add_co_ci_u32_e32 v17, vcc_lo, s5, v10, vcc_lo
	v_fma_f16 v9, v115, v21, -v2
	v_cmp_ne_u32_e32 vcc_lo, v5, v24
	v_and_b32_e32 v25, 7, v16
	v_add_nc_u32_e32 v14, 0xfffffc10, v23
	v_mul_f64 v[2:3], v[3:4], s[2:3]
	v_cvt_f32_f16_e32 v4, v9
	v_cndmask_b32_e64 v5, 0, 1, vcc_lo
	v_cmp_lt_i32_e32 vcc_lo, 5, v25
	v_cmp_eq_u32_e64 s0, 3, v25
	v_lshl_or_b32 v21, v14, 12, v20
	v_cvt_f64_f32_e32 v[9:10], v4
	v_or_b32_e32 v5, v22, v5
	v_lshrrev_b32_e32 v4, 2, v16
	v_cmp_gt_i32_e64 s1, 1, v14
	s_or_b32 vcc_lo, s0, vcc_lo
	s_mul_hi_u32 s4, s8, 0x5a0
	s_mul_i32 s5, s8, 0x5a0
	v_cndmask_b32_e64 v16, v21, v5, s1
	v_add_co_ci_u32_e32 v21, vcc_lo, 0, v4, vcc_lo
	v_add_co_u32 v0, vcc_lo, v18, v0
	v_add_co_ci_u32_e32 v1, vcc_lo, v17, v1, vcc_lo
	v_cmp_ne_u32_e32 vcc_lo, 0, v7
	ds_read2_b32 v[4:5], v122 offset0:64 offset1:184
	v_and_or_b32 v2, 0x1ff, v3, v2
	v_cmp_eq_u32_e64 s1, 0x40f, v19
	v_and_b32_e32 v22, 7, v16
	v_cndmask_b32_e64 v7, 0, 1, vcc_lo
	v_cmp_gt_i32_e32 vcc_lo, 31, v19
	v_mul_f64 v[9:10], v[9:10], s[2:3]
	v_lshrrev_b32_e32 v16, 2, v16
	v_cmp_eq_u32_e64 s0, 3, v22
	v_lshl_or_b32 v7, v7, 9, 0x7c00
	v_cndmask_b32_e32 v21, 0x7c00, v21, vcc_lo
	v_cmp_lt_i32_e32 vcc_lo, 5, v22
	v_lshrrev_b32_e32 v19, 8, v3
	global_store_dword v[0:1], v13, off
	v_cndmask_b32_e64 v7, v21, v7, s1
	v_cmp_ne_u32_e64 s1, 0, v2
	v_bfe_u32 v21, v3, 20, 11
	s_or_b32 vcc_lo, s0, vcc_lo
	s_mul_i32 s0, s9, 0x5a0
	v_add_co_ci_u32_e32 v16, vcc_lo, 0, v16, vcc_lo
	v_cndmask_b32_e64 v2, 0, 1, s1
	v_cmp_ne_u32_e32 vcc_lo, 0, v20
	v_sub_nc_u32_e32 v22, 0x3f1, v21
	v_add_nc_u32_e32 v21, 0xfffffc10, v21
	s_add_i32 s4, s4, s0
	v_and_or_b32 v2, 0xffe, v19, v2
	s_waitcnt lgkmcnt(0)
	v_lshrrev_b32_e32 v19, 16, v5
	v_cndmask_b32_e64 v20, 0, 1, vcc_lo
	v_cmp_gt_i32_e32 vcc_lo, 31, v14
	v_med3_i32 v22, v22, 0, 13
	v_or_b32_e32 v23, 0x1000, v2
	v_mul_f16_sdwa v24, v114, v19 dst_sel:DWORD dst_unused:UNUSED_PAD src0_sel:WORD_1 src1_sel:DWORD
	v_lshl_or_b32 v20, v20, 9, 0x7c00
	v_cndmask_b32_e32 v16, 0x7c00, v16, vcc_lo
	v_cmp_eq_u32_e32 vcc_lo, 0x40f, v14
	v_lshrrev_b32_e32 v25, v22, v23
	v_fmac_f16_e32 v24, v114, v5
	v_and_or_b32 v9, 0x1ff, v10, v9
	v_lshrrev_b32_e32 v13, 8, v10
	v_cndmask_b32_e32 v14, v16, v20, vcc_lo
	v_lshlrev_b32_e32 v20, v22, v25
	v_cvt_f32_f16_e32 v16, v24
	v_cmp_ne_u32_e32 vcc_lo, 0, v9
	v_and_or_b32 v22, 0x8000, v8, v7
	v_and_or_b32 v11, 0x8000, v11, v14
	v_mul_f16_sdwa v5, v114, v5 dst_sel:DWORD dst_unused:UNUSED_PAD src0_sel:WORD_1 src1_sel:DWORD
	v_cvt_f64_f32_e32 v[7:8], v16
	v_cndmask_b32_e64 v9, 0, 1, vcc_lo
	v_cmp_ne_u32_e32 vcc_lo, v20, v23
	v_bfe_u32 v16, v10, 20, 11
	v_and_b32_e32 v20, 0xffff, v22
	v_lshl_or_b32 v22, v21, 12, v2
	v_and_or_b32 v9, 0xffe, v13, v9
	v_cndmask_b32_e64 v14, 0, 1, vcc_lo
	v_sub_nc_u32_e32 v13, 0x3f1, v16
	v_cmp_gt_i32_e32 vcc_lo, 1, v21
	v_fma_f16 v5, v114, v19, -v5
	v_or_b32_e32 v23, 0x1000, v9
	v_or_b32_e32 v14, v25, v14
	v_med3_i32 v13, v13, 0, 13
	v_lshl_or_b32 v11, v11, 16, v20
	v_cvt_f32_f16_e32 v5, v5
	v_add_nc_u32_e32 v16, 0xfffffc10, v16
	v_cndmask_b32_e32 v14, v22, v14, vcc_lo
	v_lshrrev_b32_e32 v22, v13, v23
	v_cvt_f64_f32_e32 v[19:20], v5
	v_and_b32_e32 v24, 7, v14
	v_mul_f64 v[7:8], v[7:8], s[2:3]
	v_lshlrev_b32_e32 v13, v13, v22
	v_lshrrev_b32_e32 v5, 2, v14
	v_cmp_lt_i32_e32 vcc_lo, 5, v24
	v_cmp_eq_u32_e64 s0, 3, v24
	v_cmp_ne_u32_e64 s1, v13, v23
	ds_read2_b32 v[13:14], v117 offset0:32 offset1:152
	s_or_b32 vcc_lo, s0, vcc_lo
	v_cndmask_b32_e64 v23, 0, 1, s1
	v_add_co_ci_u32_e32 v5, vcc_lo, 0, v5, vcc_lo
	v_cmp_ne_u32_e32 vcc_lo, 0, v2
	v_or_b32_e32 v22, v22, v23
	v_lshl_or_b32 v23, v16, 12, v9
	v_cndmask_b32_e64 v2, 0, 1, vcc_lo
	v_cmp_gt_i32_e32 vcc_lo, 1, v16
	v_mul_f64 v[19:20], v[19:20], s[2:3]
	v_and_or_b32 v7, 0x1ff, v8, v7
	v_lshrrev_b32_e32 v24, 8, v8
	v_lshl_or_b32 v2, v2, 9, 0x7c00
	v_cndmask_b32_e32 v22, v23, v22, vcc_lo
	v_cmp_gt_i32_e32 vcc_lo, 31, v21
	s_waitcnt lgkmcnt(0)
	v_lshrrev_b32_e32 v26, 16, v13
	v_bfe_u32 v25, v8, 20, 11
	v_lshrrev_b32_e32 v8, 16, v8
	v_and_b32_e32 v23, 7, v22
	v_cndmask_b32_e32 v5, 0x7c00, v5, vcc_lo
	v_cmp_ne_u32_e32 vcc_lo, 0, v7
	v_lshrrev_b32_e32 v22, 2, v22
	v_cmp_eq_u32_e64 s0, 3, v23
	v_cndmask_b32_e64 v7, 0, 1, vcc_lo
	v_cmp_eq_u32_e32 vcc_lo, 0x40f, v21
	v_lshrrev_b32_e32 v21, 16, v3
	v_sub_nc_u32_e32 v3, 0x3f1, v25
	v_and_or_b32 v7, 0xffe, v24, v7
	v_cndmask_b32_e32 v5, v5, v2, vcc_lo
	v_cmp_lt_i32_e32 vcc_lo, 5, v23
	v_mul_f16_sdwa v2, v109, v26 dst_sel:DWORD dst_unused:UNUSED_PAD src0_sel:WORD_1 src1_sel:DWORD
	v_med3_i32 v24, v3, 0, 13
	v_or_b32_e32 v23, 0x1000, v7
	v_and_or_b32 v19, 0x1ff, v20, v19
	s_or_b32 vcc_lo, s0, vcc_lo
	v_fmac_f16_e32 v2, v109, v13
	v_add_co_ci_u32_e32 v22, vcc_lo, 0, v22, vcc_lo
	v_cmp_ne_u32_e32 vcc_lo, 0, v9
	v_lshrrev_b32_e32 v27, v24, v23
	v_cvt_f32_f16_e32 v2, v2
	v_lshrrev_b32_e32 v28, 8, v20
	v_bfe_u32 v29, v20, 20, 11
	v_cndmask_b32_e64 v9, 0, 1, vcc_lo
	v_cmp_gt_i32_e32 vcc_lo, 31, v16
	v_cvt_f64_f32_e32 v[2:3], v2
	v_lshlrev_b32_e32 v24, v24, v27
	v_and_or_b32 v5, 0x8000, v21, v5
	v_lshl_or_b32 v9, v9, 9, 0x7c00
	v_cndmask_b32_e32 v22, 0x7c00, v22, vcc_lo
	v_cmp_ne_u32_e32 vcc_lo, 0, v19
	v_sub_nc_u32_e32 v21, 0x3f1, v29
	v_mul_f16_sdwa v13, v109, v13 dst_sel:DWORD dst_unused:UNUSED_PAD src0_sel:WORD_1 src1_sel:DWORD
	v_and_b32_e32 v5, 0xffff, v5
	v_cndmask_b32_e64 v19, 0, 1, vcc_lo
	v_cmp_ne_u32_e32 vcc_lo, v24, v23
	v_add_nc_u32_e32 v24, 0xfffffc10, v25
	v_med3_i32 v21, v21, 0, 13
	v_fma_f16 v13, v109, v26, -v13
	v_and_or_b32 v19, 0xffe, v28, v19
	v_cndmask_b32_e64 v23, 0, 1, vcc_lo
	v_cmp_eq_u32_e32 vcc_lo, 0x40f, v16
	v_lshl_or_b32 v25, v24, 12, v7
	v_or_b32_e32 v23, v27, v23
	v_cndmask_b32_e32 v16, v22, v9, vcc_lo
	v_cmp_gt_i32_e32 vcc_lo, 1, v24
	v_or_b32_e32 v22, 0x1000, v19
	v_lshrrev_b32_e32 v27, 16, v10
	v_mul_f64 v[9:10], v[2:3], s[2:3]
	v_cndmask_b32_e32 v3, v25, v23, vcc_lo
	v_lshrrev_b32_e32 v2, v21, v22
	v_add_co_u32 v0, vcc_lo, v0, s5
	v_add_co_ci_u32_e32 v1, vcc_lo, s4, v1, vcc_lo
	v_and_b32_e32 v23, 7, v3
	v_lshlrev_b32_e32 v21, v21, v2
	v_lshrrev_b32_e32 v3, 2, v3
	global_store_dword v[0:1], v11, off
	v_cvt_f32_f16_e32 v11, v13
	v_cmp_lt_i32_e32 vcc_lo, 5, v23
	v_cmp_eq_u32_e64 s0, 3, v23
	v_and_or_b32 v16, 0x8000, v27, v16
	v_cmp_ne_u32_e64 s1, v21, v22
	v_cvt_f64_f32_e32 v[21:22], v11
	s_or_b32 vcc_lo, s0, vcc_lo
	v_lshl_or_b32 v5, v16, 16, v5
	v_add_co_ci_u32_e32 v11, vcc_lo, 0, v3, vcc_lo
	v_cndmask_b32_e64 v13, 0, 1, s1
	v_add_nc_u32_e32 v16, 0xfffffc10, v29
	v_cmp_ne_u32_e32 vcc_lo, 0, v7
	v_and_or_b32 v9, 0x1ff, v10, v9
	v_bfe_u32 v25, v10, 20, 11
	v_or_b32_e32 v13, v2, v13
	v_lshl_or_b32 v23, v16, 12, v19
	v_cndmask_b32_e64 v7, 0, 1, vcc_lo
	v_cmp_gt_i32_e32 vcc_lo, 1, v16
	ds_read2_b32 v[2:3], v116 offset0:16 offset1:136
	v_lshl_or_b32 v7, v7, 9, 0x7c00
	v_cndmask_b32_e32 v13, v23, v13, vcc_lo
	v_cmp_ne_u32_e32 vcc_lo, 0, v9
	v_lshrrev_b32_e32 v23, 8, v10
	v_mul_f64 v[21:22], v[21:22], s[2:3]
	v_and_b32_e32 v26, 7, v13
	v_cndmask_b32_e64 v9, 0, 1, vcc_lo
	v_cmp_gt_i32_e32 vcc_lo, 31, v24
	v_lshrrev_b32_e32 v13, 2, v13
	v_cmp_eq_u32_e64 s0, 3, v26
	v_and_or_b32 v27, 0xffe, v23, v9
	v_cndmask_b32_e32 v11, 0x7c00, v11, vcc_lo
	v_cmp_eq_u32_e32 vcc_lo, 0x40f, v24
	v_sub_nc_u32_e32 v9, 0x3f1, v25
	s_waitcnt lgkmcnt(0)
	v_lshrrev_b32_e32 v23, 16, v3
	v_cndmask_b32_e32 v7, v11, v7, vcc_lo
	v_cmp_lt_i32_e32 vcc_lo, 5, v26
	v_or_b32_e32 v11, 0x1000, v27
	v_med3_i32 v9, v9, 0, 13
	v_mul_f16_sdwa v24, v108, v23 dst_sel:DWORD dst_unused:UNUSED_PAD src0_sel:WORD_1 src1_sel:DWORD
	v_and_or_b32 v28, 0x8000, v8, v7
	s_or_b32 vcc_lo, s0, vcc_lo
	v_add_co_ci_u32_e32 v13, vcc_lo, 0, v13, vcc_lo
	v_lshrrev_b32_e32 v26, v9, v11
	v_cmp_ne_u32_e32 vcc_lo, 0, v19
	v_fmac_f16_e32 v24, v108, v3
	v_mul_f16_sdwa v3, v108, v3 dst_sel:DWORD dst_unused:UNUSED_PAD src0_sel:WORD_1 src1_sel:DWORD
	v_lshlrev_b32_e32 v9, v9, v26
	v_cndmask_b32_e64 v19, 0, 1, vcc_lo
	v_cmp_gt_i32_e32 vcc_lo, 31, v16
	v_cvt_f32_f16_e32 v7, v24
	v_fma_f16 v3, v108, v23, -v3
	v_lshl_or_b32 v19, v19, 9, 0x7c00
	v_cndmask_b32_e32 v13, 0x7c00, v13, vcc_lo
	v_cmp_ne_u32_e32 vcc_lo, v9, v11
	v_and_or_b32 v11, 0x1ff, v22, v21
	v_cvt_f64_f32_e32 v[7:8], v7
	v_add_nc_u32_e32 v21, 0xfffffc10, v25
	v_lshrrev_b32_e32 v25, 8, v22
	v_cndmask_b32_e64 v9, 0, 1, vcc_lo
	v_cmp_ne_u32_e32 vcc_lo, 0, v11
	v_cvt_f32_f16_e32 v3, v3
	v_lshl_or_b32 v24, v21, 12, v27
	v_or_b32_e32 v9, v26, v9
	v_cndmask_b32_e64 v11, 0, 1, vcc_lo
	v_cmp_eq_u32_e32 vcc_lo, 0x40f, v16
	v_bfe_u32 v26, v22, 20, 11
	v_and_or_b32 v16, 0xffe, v25, v11
	v_cndmask_b32_e32 v13, v13, v19, vcc_lo
	v_cmp_gt_i32_e32 vcc_lo, 1, v21
	v_sub_nc_u32_e32 v11, 0x3f1, v26
	v_lshrrev_b32_e32 v25, 16, v20
	v_or_b32_e32 v29, 0x1000, v16
	v_cvt_f64_f32_e32 v[19:20], v3
	v_cndmask_b32_e32 v9, v24, v9, vcc_lo
	v_med3_i32 v11, v11, 0, 13
	v_add_co_u32 v0, vcc_lo, v0, s5
	v_mul_f64 v[23:24], v[7:8], s[2:3]
	v_and_b32_e32 v3, 7, v9
	v_lshrrev_b32_e32 v7, v11, v29
	v_add_co_ci_u32_e32 v1, vcc_lo, s4, v1, vcc_lo
	v_lshrrev_b32_e32 v9, 2, v9
	v_cmp_lt_i32_e32 vcc_lo, 5, v3
	v_cmp_eq_u32_e64 s0, 3, v3
	v_lshlrev_b32_e32 v3, v11, v7
	v_and_or_b32 v8, 0x8000, v25, v13
	v_and_b32_e32 v13, 0xffff, v28
	global_store_dword v[0:1], v5, off
	s_or_b32 vcc_lo, s0, vcc_lo
	v_add_co_ci_u32_e32 v11, vcc_lo, 0, v9, vcc_lo
	v_cmp_ne_u32_e32 vcc_lo, v3, v29
	v_lshl_or_b32 v5, v8, 16, v13
	ds_read2_b32 v[8:9], v111 offset0:112 offset1:232
	v_mul_f64 v[19:20], v[19:20], s[2:3]
	v_add_nc_u32_e32 v13, 0xfffffc10, v26
	v_cndmask_b32_e64 v3, 0, 1, vcc_lo
	v_cmp_ne_u32_e32 vcc_lo, 0, v27
	v_and_or_b32 v23, 0x1ff, v24, v23
	v_bfe_u32 v26, v24, 20, 11
	v_or_b32_e32 v3, v7, v3
	v_cndmask_b32_e64 v25, 0, 1, vcc_lo
	v_cmp_gt_i32_e32 vcc_lo, 31, v21
	v_lshl_or_b32 v7, v13, 12, v16
	v_add_nc_u32_e32 v33, 0xfffffc10, v26
	v_lshl_or_b32 v25, v25, 9, 0x7c00
	v_cndmask_b32_e32 v11, 0x7c00, v11, vcc_lo
	v_cmp_gt_i32_e32 vcc_lo, 1, v13
	s_waitcnt lgkmcnt(0)
	v_lshrrev_b32_e32 v27, 16, v8
	v_cndmask_b32_e32 v3, v7, v3, vcc_lo
	v_cmp_ne_u32_e32 vcc_lo, 0, v23
	v_lshrrev_b32_e32 v23, 8, v24
	v_and_or_b32 v19, 0x1ff, v20, v19
	v_bfe_u32 v30, v20, 20, 11
	v_lshrrev_b32_e32 v24, 16, v24
	v_cndmask_b32_e64 v7, 0, 1, vcc_lo
	v_cmp_eq_u32_e32 vcc_lo, 0x40f, v21
	v_cmp_ne_u32_e64 s0, 0, v19
	v_lshrrev_b32_e32 v19, 8, v20
	v_sub_nc_u32_e32 v31, 0x3f1, v30
	v_and_or_b32 v7, 0xffe, v23, v7
	v_cndmask_b32_e32 v21, v11, v25, vcc_lo
	v_sub_nc_u32_e32 v11, 0x3f1, v26
	v_mul_f16_sdwa v23, v106, v27 dst_sel:DWORD dst_unused:UNUSED_PAD src0_sel:WORD_1 src1_sel:DWORD
	v_lshrrev_b32_e32 v25, 16, v10
	v_and_b32_e32 v10, 7, v3
	v_or_b32_e32 v28, 0x1000, v7
	v_med3_i32 v29, v11, 0, 13
	v_fmac_f16_e32 v23, v106, v8
	v_add_co_u32 v0, vcc_lo, v0, s5
	v_add_co_ci_u32_e32 v1, vcc_lo, s4, v1, vcc_lo
	v_cmp_lt_i32_e32 vcc_lo, 5, v10
	v_cndmask_b32_e64 v11, 0, 1, s0
	v_cmp_eq_u32_e64 s0, 3, v10
	v_cvt_f32_f16_e32 v10, v23
	v_lshrrev_b32_e32 v23, v29, v28
	v_lshrrev_b32_e32 v3, 2, v3
	v_and_or_b32 v19, 0xffe, v19, v11
	s_or_b32 vcc_lo, s0, vcc_lo
	v_cvt_f64_f32_e32 v[10:11], v10
	v_lshlrev_b32_e32 v29, v29, v23
	v_add_co_ci_u32_e32 v3, vcc_lo, 0, v3, vcc_lo
	v_or_b32_e32 v32, 0x1000, v19
	v_med3_i32 v31, v31, 0, 13
	v_cmp_ne_u32_e32 vcc_lo, v29, v28
	v_lshl_or_b32 v26, v33, 12, v7
	v_mul_f16_sdwa v8, v106, v8 dst_sel:DWORD dst_unused:UNUSED_PAD src0_sel:WORD_1 src1_sel:DWORD
	v_and_or_b32 v21, 0x8000, v25, v21
	v_lshrrev_b32_e32 v29, v31, v32
	v_cndmask_b32_e64 v28, 0, 1, vcc_lo
	v_cmp_ne_u32_e32 vcc_lo, 0, v16
	v_fma_f16 v8, v106, v27, -v8
	global_store_dword v[0:1], v5, off
	v_lshrrev_b32_e32 v20, 16, v20
	v_or_b32_e32 v23, v23, v28
	v_cndmask_b32_e64 v16, 0, 1, vcc_lo
	v_cmp_gt_i32_e32 vcc_lo, 31, v13
	v_lshlrev_b32_e32 v28, v31, v29
	v_cvt_f32_f16_e32 v8, v8
	v_cndmask_b32_e32 v3, 0x7c00, v3, vcc_lo
	v_cmp_gt_i32_e32 vcc_lo, 1, v33
	v_cndmask_b32_e32 v23, v26, v23, vcc_lo
	v_cmp_ne_u32_e32 vcc_lo, v28, v32
	v_mul_f64 v[25:26], v[10:11], s[2:3]
	v_add_nc_u32_e32 v28, 0xfffffc10, v30
	v_lshl_or_b32 v11, v16, 9, 0x7c00
	v_and_b32_e32 v16, 7, v23
	v_cndmask_b32_e64 v10, 0, 1, vcc_lo
	v_cmp_eq_u32_e32 vcc_lo, 0x40f, v13
	v_lshl_or_b32 v27, v28, 12, v19
	v_cmp_gt_i32_e64 s0, 1, v28
	v_lshrrev_b32_e32 v13, 16, v22
	v_or_b32_e32 v10, v29, v10
	v_cndmask_b32_e32 v3, v3, v11, vcc_lo
	v_cmp_lt_i32_e32 vcc_lo, 5, v16
	v_cndmask_b32_e64 v22, v27, v10, s0
	v_cvt_f64_f32_e32 v[10:11], v8
	v_cmp_eq_u32_e64 s0, 3, v16
	v_lshrrev_b32_e32 v8, 2, v23
	v_and_or_b32 v3, 0x8000, v13, v3
	v_and_b32_e32 v16, 7, v22
	v_and_b32_e32 v13, 0xffff, v21
	s_or_b32 vcc_lo, s0, vcc_lo
	v_and_or_b32 v21, 0x1ff, v26, v25
	v_add_co_ci_u32_e32 v23, vcc_lo, 0, v8, vcc_lo
	v_cmp_ne_u32_e32 vcc_lo, 0, v7
	ds_read2_b32 v[7:8], v110 offset0:96 offset1:216
	v_cmp_eq_u32_e64 s0, 3, v16
	v_cmp_ne_u32_e64 s1, 0, v21
	v_lshrrev_b32_e32 v30, 2, v22
	v_cndmask_b32_e64 v25, 0, 1, vcc_lo
	v_cmp_lt_i32_e32 vcc_lo, 5, v16
	v_lshrrev_b32_e32 v27, 8, v26
	v_cndmask_b32_e64 v16, 0, 1, s1
	v_bfe_u32 v29, v26, 20, 11
	v_cmp_gt_i32_e64 s1, 31, v33
	s_or_b32 vcc_lo, s0, vcc_lo
	v_mul_f64 v[21:22], v[10:11], s[2:3]
	v_add_co_ci_u32_e32 v11, vcc_lo, 0, v30, vcc_lo
	v_cmp_ne_u32_e32 vcc_lo, 0, v19
	v_and_or_b32 v16, 0xffe, v27, v16
	v_sub_nc_u32_e32 v10, 0x3f1, v29
	v_cndmask_b32_e64 v23, 0x7c00, v23, s1
	v_lshl_or_b32 v25, v25, 9, 0x7c00
	v_cndmask_b32_e64 v19, 0, 1, vcc_lo
	v_cmp_gt_i32_e32 vcc_lo, 31, v28
	v_or_b32_e32 v27, 0x1000, v16
	v_med3_i32 v10, v10, 0, 13
	s_waitcnt lgkmcnt(0)
	v_lshrrev_b32_e32 v31, 16, v8
	v_lshl_or_b32 v19, v19, 9, 0x7c00
	v_cndmask_b32_e32 v11, 0x7c00, v11, vcc_lo
	v_cmp_eq_u32_e32 vcc_lo, 0x40f, v33
	v_lshrrev_b32_e32 v30, v10, v27
	v_add_nc_u32_e32 v29, 0xfffffc10, v29
	v_lshl_or_b32 v3, v3, 16, v13
	v_lshrrev_b32_e32 v34, 16, v26
	v_cndmask_b32_e32 v23, v23, v25, vcc_lo
	v_mul_f16_sdwa v25, v105, v31 dst_sel:DWORD dst_unused:UNUSED_PAD src0_sel:WORD_1 src1_sel:DWORD
	v_lshlrev_b32_e32 v10, v10, v30
	v_cmp_eq_u32_e32 vcc_lo, 0x40f, v28
	v_and_or_b32 v5, 0x8000, v24, v23
	v_fmac_f16_e32 v25, v105, v8
	v_lshrrev_b32_e32 v24, 8, v22
	v_cndmask_b32_e32 v19, v11, v19, vcc_lo
	v_and_or_b32 v11, 0x1ff, v22, v21
	v_cmp_ne_u32_e32 vcc_lo, v10, v27
	v_cvt_f32_f16_e32 v10, v25
	v_bfe_u32 v25, v22, 20, 11
	v_mul_f16_sdwa v8, v105, v8 dst_sel:DWORD dst_unused:UNUSED_PAD src0_sel:WORD_1 src1_sel:DWORD
	v_and_or_b32 v19, 0x8000, v20, v19
	v_cndmask_b32_e64 v21, 0, 1, vcc_lo
	v_cmp_ne_u32_e32 vcc_lo, 0, v11
	v_cvt_f64_f32_e32 v[10:11], v10
	v_fma_f16 v8, v105, v31, -v8
	v_and_b32_e32 v5, 0xffff, v5
	v_or_b32_e32 v21, v30, v21
	v_cndmask_b32_e64 v23, 0, 1, vcc_lo
	v_cmp_gt_i32_e32 vcc_lo, 1, v29
	v_cvt_f32_f16_e32 v8, v8
	v_lshl_or_b32 v5, v19, 16, v5
	v_and_or_b32 v13, 0xffe, v24, v23
	v_sub_nc_u32_e32 v23, 0x3f1, v25
	v_lshl_or_b32 v24, v29, 12, v16
	v_or_b32_e32 v27, 0x1000, v13
	v_med3_i32 v23, v23, 0, 13
	v_cndmask_b32_e32 v21, v24, v21, vcc_lo
	v_add_co_u32 v0, vcc_lo, v0, s5
	v_add_co_ci_u32_e32 v1, vcc_lo, s4, v1, vcc_lo
	v_lshrrev_b32_e32 v28, v23, v27
	v_and_b32_e32 v24, 7, v21
	v_mul_f64 v[19:20], v[10:11], s[2:3]
	v_lshrrev_b32_e32 v11, 2, v21
	v_add_nc_u32_e32 v21, 0xfffffc10, v25
	v_lshlrev_b32_e32 v10, v23, v28
	v_cmp_lt_i32_e32 vcc_lo, 5, v24
	v_cmp_eq_u32_e64 s0, 3, v24
	v_cvt_f64_f32_e32 v[23:24], v8
	v_lshl_or_b32 v30, v21, 12, v13
	v_cmp_ne_u32_e64 s1, v10, v27
	global_store_dword v[0:1], v3, off
	s_or_b32 vcc_lo, s0, vcc_lo
	v_add_co_ci_u32_e32 v25, vcc_lo, 0, v11, vcc_lo
	v_cmp_ne_u32_e32 vcc_lo, 0, v16
	v_cndmask_b32_e64 v8, 0, 1, s1
	ds_read2_b32 v[10:11], v107 offset0:64 offset1:184
	v_cmp_eq_u32_e64 s1, 0x40f, v29
	v_cndmask_b32_e64 v16, 0, 1, vcc_lo
	v_add_co_u32 v27, vcc_lo, v0, s5
	v_or_b32_e32 v8, v28, v8
	v_add_co_ci_u32_e32 v28, vcc_lo, s4, v1, vcc_lo
	v_cmp_gt_i32_e32 vcc_lo, 1, v21
	v_and_or_b32 v19, 0x1ff, v20, v19
	v_bfe_u32 v31, v20, 20, 11
	v_mul_f64 v[23:24], v[23:24], s[2:3]
	v_lshl_or_b32 v16, v16, 9, 0x7c00
	v_cndmask_b32_e32 v8, v30, v8, vcc_lo
	v_cmp_gt_i32_e32 vcc_lo, 31, v29
	v_lshrrev_b32_e32 v30, 8, v20
	v_sub_nc_u32_e32 v0, 0x3f1, v31
	global_store_dword v[27:28], v5, off
	v_and_b32_e32 v32, 7, v8
	v_cndmask_b32_e32 v25, 0x7c00, v25, vcc_lo
	v_cmp_ne_u32_e32 vcc_lo, 0, v19
	s_waitcnt lgkmcnt(0)
	v_lshrrev_b32_e32 v3, 16, v10
	v_lshrrev_b32_e32 v8, 2, v8
	v_cmp_eq_u32_e64 s0, 3, v32
	v_med3_i32 v0, v0, 0, 13
	v_cndmask_b32_e64 v19, 0, 1, vcc_lo
	v_cmp_lt_i32_e32 vcc_lo, 5, v32
	v_mul_f16_sdwa v1, v104, v3 dst_sel:DWORD dst_unused:UNUSED_PAD src0_sel:WORD_1 src1_sel:DWORD
	v_cndmask_b32_e64 v16, v25, v16, s1
	v_and_or_b32 v19, 0xffe, v30, v19
	s_or_b32 vcc_lo, s0, vcc_lo
	v_fmac_f16_e32 v1, v104, v10
	v_add_co_ci_u32_e32 v8, vcc_lo, 0, v8, vcc_lo
	v_or_b32_e32 v30, 0x1000, v19
	v_cmp_ne_u32_e32 vcc_lo, 0, v13
	v_and_or_b32 v23, 0x1ff, v24, v23
	v_cvt_f32_f16_e32 v1, v1
	v_lshrrev_b32_e32 v32, 8, v24
	v_lshrrev_b32_e32 v25, v0, v30
	v_cndmask_b32_e64 v13, 0, 1, vcc_lo
	v_cmp_gt_i32_e32 vcc_lo, 31, v21
	v_bfe_u32 v33, v24, 20, 11
	v_mul_f16_sdwa v10, v104, v10 dst_sel:DWORD dst_unused:UNUSED_PAD src0_sel:WORD_1 src1_sel:DWORD
	v_lshlrev_b32_e32 v29, v0, v25
	v_cvt_f64_f32_e32 v[0:1], v1
	v_cndmask_b32_e32 v8, 0x7c00, v8, vcc_lo
	v_cmp_ne_u32_e32 vcc_lo, 0, v23
	v_lshl_or_b32 v13, v13, 9, 0x7c00
	v_fma_f16 v3, v104, v3, -v10
	v_cndmask_b32_e64 v23, 0, 1, vcc_lo
	v_cmp_ne_u32_e32 vcc_lo, v29, v30
	v_add_nc_u32_e32 v30, 0xfffffc10, v31
	v_sub_nc_u32_e32 v31, 0x3f1, v33
	v_and_or_b32 v23, 0xffe, v32, v23
	v_cndmask_b32_e64 v29, 0, 1, vcc_lo
	v_cmp_eq_u32_e32 vcc_lo, 0x40f, v21
	v_med3_i32 v31, v31, 0, 13
	v_or_b32_e32 v32, 0x1000, v23
	v_or_b32_e32 v25, v25, v29
	v_lshl_or_b32 v29, v30, 12, v19
	v_cndmask_b32_e32 v8, v8, v13, vcc_lo
	v_cmp_gt_i32_e32 vcc_lo, 1, v30
	v_and_or_b32 v13, 0x8000, v34, v16
	v_cndmask_b32_e32 v10, v29, v25, vcc_lo
	v_mul_f64 v[25:26], v[0:1], s[2:3]
	v_cvt_f32_f16_e32 v0, v3
	v_lshrrev_b32_e32 v3, v31, v32
	v_lshrrev_b32_e32 v1, 16, v22
	v_and_b32_e32 v16, 7, v10
	v_lshrrev_b32_e32 v10, 2, v10
	v_cvt_f64_f32_e32 v[21:22], v0
	v_lshlrev_b32_e32 v0, v31, v3
	v_and_or_b32 v5, 0x8000, v1, v8
	v_cmp_lt_i32_e32 vcc_lo, 5, v16
	v_cmp_eq_u32_e64 s0, 3, v16
	v_and_b32_e32 v8, 0xffff, v13
	v_cmp_ne_u32_e64 s1, v0, v32
	ds_read2_b32 v[0:1], v112 offset0:48 offset1:168
	v_add_nc_u32_e32 v16, 0xfffffc10, v33
	s_or_b32 vcc_lo, s0, vcc_lo
	v_lshl_or_b32 v5, v5, 16, v8
	v_add_co_ci_u32_e32 v10, vcc_lo, 0, v10, vcc_lo
	v_cmp_ne_u32_e32 vcc_lo, 0, v19
	v_cndmask_b32_e64 v13, 0, 1, s1
	v_and_or_b32 v25, 0x1ff, v26, v25
	v_bfe_u32 v29, v26, 20, 11
	v_cndmask_b32_e64 v19, 0, 1, vcc_lo
	v_cmp_gt_i32_e32 vcc_lo, 31, v30
	v_or_b32_e32 v3, v3, v13
	v_lshl_or_b32 v13, v16, 12, v23
	v_mul_f64 v[21:22], v[21:22], s[2:3]
	v_lshl_or_b32 v19, v19, 9, 0x7c00
	v_cndmask_b32_e32 v10, 0x7c00, v10, vcc_lo
	v_cmp_gt_i32_e32 vcc_lo, 1, v16
	s_waitcnt lgkmcnt(0)
	v_lshrrev_b32_e32 v32, 16, v1
	v_cndmask_b32_e32 v3, v13, v3, vcc_lo
	v_cmp_ne_u32_e32 vcc_lo, 0, v25
	v_lshrrev_b32_e32 v25, 8, v26
	v_and_b32_e32 v31, 7, v3
	v_cndmask_b32_e64 v13, 0, 1, vcc_lo
	v_cmp_eq_u32_e32 vcc_lo, 0x40f, v30
	v_lshrrev_b32_e32 v3, 2, v3
	v_cmp_eq_u32_e64 s0, 3, v31
	v_and_or_b32 v13, 0xffe, v25, v13
	v_cndmask_b32_e32 v10, v10, v19, vcc_lo
	v_mul_f16_sdwa v19, v103, v32 dst_sel:DWORD dst_unused:UNUSED_PAD src0_sel:WORD_1 src1_sel:DWORD
	v_cmp_lt_i32_e32 vcc_lo, 5, v31
	v_sub_nc_u32_e32 v25, 0x3f1, v29
	v_or_b32_e32 v30, 0x1000, v13
	v_and_or_b32 v21, 0x1ff, v22, v21
	v_fmac_f16_e32 v19, v103, v1
	s_or_b32 vcc_lo, s0, vcc_lo
	v_med3_i32 v25, v25, 0, 13
	v_add_co_ci_u32_e32 v3, vcc_lo, 0, v3, vcc_lo
	v_cvt_f32_f16_e32 v19, v19
	v_cmp_gt_i32_e32 vcc_lo, 31, v16
	v_lshrrev_b32_e32 v31, 16, v20
	v_lshrrev_b32_e32 v33, v25, v30
	v_bfe_u32 v34, v22, 20, 11
	v_cvt_f64_f32_e32 v[19:20], v19
	v_cndmask_b32_e32 v3, 0x7c00, v3, vcc_lo
	v_cmp_ne_u32_e32 vcc_lo, 0, v21
	v_lshlrev_b32_e32 v25, v25, v33
	v_and_or_b32 v10, 0x8000, v31, v10
	v_lshrrev_b32_e32 v31, 8, v22
	v_add_nc_u32_e32 v29, 0xfffffc10, v29
	v_cndmask_b32_e64 v21, 0, 1, vcc_lo
	v_cmp_ne_u32_e32 vcc_lo, 0, v23
	v_mul_f16_sdwa v1, v103, v1 dst_sel:DWORD dst_unused:UNUSED_PAD src0_sel:WORD_1 src1_sel:DWORD
	v_and_b32_e32 v8, 0xffff, v10
	v_cmp_eq_u32_e64 s1, 0x40f, v29
	v_and_or_b32 v21, 0xffe, v31, v21
	v_cndmask_b32_e64 v23, 0, 1, vcc_lo
	v_cmp_ne_u32_e32 vcc_lo, v25, v30
	v_sub_nc_u32_e32 v30, 0x3f1, v34
	v_lshl_or_b32 v31, v29, 12, v13
	v_fma_f16 v1, v103, v32, -v1
	v_lshl_or_b32 v23, v23, 9, 0x7c00
	v_cndmask_b32_e64 v25, 0, 1, vcc_lo
	v_cmp_eq_u32_e32 vcc_lo, 0x40f, v16
	v_med3_i32 v30, v30, 0, 13
	v_mul_f64 v[19:20], v[19:20], s[2:3]
	v_lshrrev_b32_e32 v16, 16, v24
	v_or_b32_e32 v25, v33, v25
	v_or_b32_e32 v33, 0x1000, v21
	v_cndmask_b32_e32 v3, v3, v23, vcc_lo
	v_cmp_gt_i32_e32 vcc_lo, 1, v29
	v_cvt_f32_f16_e32 v1, v1
	v_and_or_b32 v3, 0x8000, v16, v3
	v_cndmask_b32_e32 v25, v31, v25, vcc_lo
	v_lshrrev_b32_e32 v31, v30, v33
	v_add_co_u32 v23, vcc_lo, v27, s5
	v_add_co_ci_u32_e32 v24, vcc_lo, s4, v28, vcc_lo
	v_lshlrev_b32_e32 v10, v30, v31
	v_and_b32_e32 v16, 7, v25
	v_cvt_f64_f32_e32 v[27:28], v1
	v_lshl_or_b32 v3, v3, 16, v8
	global_store_dword v[23:24], v5, off
	v_cmp_ne_u32_e64 s0, v10, v33
	v_cmp_lt_i32_e32 vcc_lo, 5, v16
	v_add_nc_u32_e32 v10, 0xfffffc10, v34
	v_lshrrev_b32_e32 v30, 8, v20
	v_lshrrev_b32_e32 v33, 16, v12
	v_cndmask_b32_e64 v1, 0, 1, s0
	v_cmp_eq_u32_e64 s0, 3, v16
	v_and_or_b32 v16, 0x1ff, v20, v19
	v_lshrrev_b32_e32 v19, 2, v25
	v_lshl_or_b32 v25, v10, 12, v21
	v_or_b32_e32 v1, v31, v1
	s_or_b32 vcc_lo, s0, vcc_lo
	v_bfe_u32 v31, v20, 20, 11
	v_add_co_ci_u32_e32 v19, vcc_lo, 0, v19, vcc_lo
	v_cmp_ne_u32_e32 vcc_lo, 0, v16
	v_mul_f64 v[27:28], v[27:28], s[2:3]
	v_cndmask_b32_e64 v16, 0, 1, vcc_lo
	v_cmp_ne_u32_e32 vcc_lo, 0, v13
	v_and_or_b32 v16, 0xffe, v30, v16
	v_cndmask_b32_e64 v13, 0, 1, vcc_lo
	v_cmp_gt_i32_e32 vcc_lo, 1, v10
	v_or_b32_e32 v32, 0x1000, v16
	v_lshl_or_b32 v13, v13, 9, 0x7c00
	v_cndmask_b32_e32 v1, v25, v1, vcc_lo
	v_sub_nc_u32_e32 v25, 0x3f1, v31
	v_cmp_gt_i32_e32 vcc_lo, 31, v29
	v_add_nc_u32_e32 v31, 0xfffffc10, v31
	v_and_b32_e32 v30, 7, v1
	v_med3_i32 v25, v25, 0, 13
	v_cndmask_b32_e32 v19, 0x7c00, v19, vcc_lo
	v_lshrrev_b32_e32 v1, 2, v1
	v_and_or_b32 v27, 0x1ff, v28, v27
	v_cmp_lt_i32_e32 vcc_lo, 5, v30
	v_cmp_eq_u32_e64 s0, 3, v30
	v_lshrrev_b32_e32 v8, v25, v32
	v_mul_f16_sdwa v30, v101, v33 dst_sel:DWORD dst_unused:UNUSED_PAD src0_sel:WORD_1 src1_sel:DWORD
	v_cndmask_b32_e64 v13, v19, v13, s1
	v_lshrrev_b32_e32 v19, 16, v26
	s_or_b32 vcc_lo, s0, vcc_lo
	v_lshlrev_b32_e32 v29, v25, v8
	v_add_co_ci_u32_e32 v1, vcc_lo, 0, v1, vcc_lo
	v_add_co_u32 v25, vcc_lo, v23, s5
	v_add_co_ci_u32_e32 v26, vcc_lo, s4, v24, vcc_lo
	v_cmp_ne_u32_e32 vcc_lo, v29, v32
	v_fmac_f16_e32 v30, v101, v12
	v_lshrrev_b32_e32 v32, 8, v28
	v_bfe_u32 v35, v28, 20, 11
	v_mul_f16_sdwa v12, v101, v12 dst_sel:DWORD dst_unused:UNUSED_PAD src0_sel:WORD_1 src1_sel:DWORD
	v_cndmask_b32_e64 v29, 0, 1, vcc_lo
	v_cmp_ne_u32_e32 vcc_lo, 0, v27
	v_cvt_f32_f16_e32 v30, v30
	v_lshl_or_b32 v34, v31, 12, v16
	v_fma_f16 v12, v101, v33, -v12
	v_or_b32_e32 v8, v8, v29
	v_cndmask_b32_e64 v27, 0, 1, vcc_lo
	v_cmp_gt_i32_e32 vcc_lo, 31, v10
	v_cvt_f64_f32_e32 v[29:30], v30
	v_and_or_b32 v19, 0x8000, v19, v13
	global_store_dword v[25:26], v3, off
	v_and_or_b32 v27, 0xffe, v32, v27
	v_cndmask_b32_e32 v1, 0x7c00, v1, vcc_lo
	v_cmp_ne_u32_e32 vcc_lo, 0, v21
	v_sub_nc_u32_e32 v32, 0x3f1, v35
	v_and_b32_e32 v19, 0xffff, v19
	v_or_b32_e32 v36, 0x1000, v27
	v_cndmask_b32_e64 v21, 0, 1, vcc_lo
	v_cmp_gt_i32_e32 vcc_lo, 1, v31
	v_med3_i32 v32, v32, 0, 13
	v_lshl_or_b32 v21, v21, 9, 0x7c00
	v_cndmask_b32_e32 v8, v34, v8, vcc_lo
	v_cmp_eq_u32_e32 vcc_lo, 0x40f, v10
	v_cvt_f32_f16_e32 v10, v12
	v_lshrrev_b32_e32 v33, v32, v36
	v_lshrrev_b32_e32 v12, 16, v22
	v_and_b32_e32 v13, 7, v8
	v_cndmask_b32_e32 v1, v1, v21, vcc_lo
	v_mul_f64 v[21:22], v[29:30], s[2:3]
	v_cvt_f64_f32_e32 v[29:30], v10
	v_lshrrev_b32_e32 v8, 2, v8
	v_cmp_lt_i32_e32 vcc_lo, 5, v13
	v_cmp_eq_u32_e64 s0, 3, v13
	v_lshlrev_b32_e32 v32, v32, v33
	v_and_or_b32 v1, 0x8000, v12, v1
	ds_read2_b32 v[12:13], v102 offset0:96 offset1:216
	s_or_b32 vcc_lo, s0, vcc_lo
	v_cmp_ne_u32_e64 s1, v32, v36
	v_add_co_ci_u32_e32 v8, vcc_lo, 0, v8, vcc_lo
	v_cmp_ne_u32_e32 vcc_lo, 0, v16
	v_add_nc_u32_e32 v32, 0xfffffc10, v35
	v_cndmask_b32_e64 v10, 0, 1, s1
	v_lshl_or_b32 v1, v1, 16, v19
	v_add_co_u32 v25, s1, v25, s5
	v_cndmask_b32_e64 v16, 0, 1, vcc_lo
	v_cmp_gt_i32_e32 vcc_lo, 31, v31
	v_or_b32_e32 v10, v33, v10
	v_lshl_or_b32 v33, v32, 12, v27
	v_mul_f64 v[29:30], v[29:30], s[2:3]
	v_lshl_or_b32 v16, v16, 9, 0x7c00
	v_cndmask_b32_e32 v8, 0x7c00, v8, vcc_lo
	v_cmp_gt_i32_e32 vcc_lo, 1, v32
	v_and_or_b32 v21, 0x1ff, v22, v21
	v_bfe_u32 v23, v22, 20, 11
	s_waitcnt lgkmcnt(0)
	v_lshrrev_b32_e32 v3, 16, v12
	v_add_co_ci_u32_e64 v26, s1, s4, v26, s1
	v_cndmask_b32_e32 v10, v33, v10, vcc_lo
	v_cmp_eq_u32_e32 vcc_lo, 0x40f, v31
	v_mul_f16_sdwa v19, v100, v3 dst_sel:DWORD dst_unused:UNUSED_PAD src0_sel:WORD_1 src1_sel:DWORD
	v_add_nc_u32_e32 v35, 0xfffffc10, v23
	global_store_dword v[25:26], v1, off
	v_and_b32_e32 v5, 7, v10
	v_cndmask_b32_e32 v8, v8, v16, vcc_lo
	v_cmp_ne_u32_e32 vcc_lo, 0, v21
	v_lshrrev_b32_e32 v16, 16, v20
	v_lshrrev_b32_e32 v21, 8, v22
	v_cmp_eq_u32_e64 s0, 3, v5
	v_fmac_f16_e32 v19, v100, v12
	v_cndmask_b32_e64 v20, 0, 1, vcc_lo
	v_cmp_lt_i32_e32 vcc_lo, 5, v5
	v_lshrrev_b32_e32 v5, 2, v10
	v_lshrrev_b32_e32 v33, 8, v30
	v_cvt_f32_f16_e32 v19, v19
	v_and_or_b32 v21, 0xffe, v21, v20
	v_sub_nc_u32_e32 v20, 0x3f1, v23
	s_or_b32 vcc_lo, s0, vcc_lo
	v_bfe_u32 v34, v30, 20, 11
	v_add_co_ci_u32_e32 v5, vcc_lo, 0, v5, vcc_lo
	v_or_b32_e32 v10, 0x1000, v21
	v_med3_i32 v24, v20, 0, 13
	v_and_or_b32 v20, 0x1ff, v30, v29
	v_mul_f16_sdwa v12, v100, v12 dst_sel:DWORD dst_unused:UNUSED_PAD src0_sel:WORD_1 src1_sel:DWORD
	v_and_or_b32 v8, 0x8000, v16, v8
	v_lshrrev_b32_e32 v29, v24, v10
	v_cmp_ne_u32_e32 vcc_lo, 0, v20
	v_cvt_f64_f32_e32 v[19:20], v19
	v_fma_f16 v3, v100, v3, -v12
	v_lshrrev_b32_e32 v12, 16, v28
	v_lshlrev_b32_e32 v24, v24, v29
	v_cndmask_b32_e64 v31, 0, 1, vcc_lo
	v_cmp_ne_u32_e32 vcc_lo, 0, v27
	v_cvt_f32_f16_e32 v3, v3
	v_and_b32_e32 v8, 0xffff, v8
	v_and_or_b32 v31, 0xffe, v33, v31
	v_cndmask_b32_e64 v27, 0, 1, vcc_lo
	v_cmp_ne_u32_e32 vcc_lo, v24, v10
	v_sub_nc_u32_e32 v33, 0x3f1, v34
	v_lshl_or_b32 v24, v35, 12, v21
	v_or_b32_e32 v36, 0x1000, v31
	v_lshl_or_b32 v27, v27, 9, 0x7c00
	v_cndmask_b32_e64 v10, 0, 1, vcc_lo
	v_cmp_gt_i32_e32 vcc_lo, 31, v32
	v_med3_i32 v23, v33, 0, 13
	v_or_b32_e32 v10, v29, v10
	v_cndmask_b32_e32 v5, 0x7c00, v5, vcc_lo
	v_cmp_gt_i32_e32 vcc_lo, 1, v35
	v_lshrrev_b32_e32 v29, v23, v36
	v_mul_f64 v[19:20], v[19:20], s[2:3]
	v_cndmask_b32_e32 v10, v24, v10, vcc_lo
	v_cmp_eq_u32_e32 vcc_lo, 0x40f, v32
	v_and_b32_e32 v16, 7, v10
	v_cndmask_b32_e32 v5, v5, v27, vcc_lo
	v_lshlrev_b32_e32 v27, v23, v29
	v_cvt_f64_f32_e32 v[23:24], v3
	v_lshrrev_b32_e32 v10, 2, v10
	v_cmp_lt_i32_e32 vcc_lo, 5, v16
	v_and_or_b32 v5, 0x8000, v12, v5
	v_cmp_ne_u32_e64 s0, v27, v36
	v_add_nc_u32_e32 v12, 0xfffffc10, v34
	v_lshl_or_b32 v5, v5, 16, v8
	v_cndmask_b32_e64 v3, 0, 1, s0
	v_cmp_eq_u32_e64 s0, 3, v16
	v_lshl_or_b32 v16, v12, 12, v31
	v_and_or_b32 v19, 0x1ff, v20, v19
	v_bfe_u32 v27, v20, 20, 11
	v_or_b32_e32 v3, v29, v3
	s_or_b32 vcc_lo, s0, vcc_lo
	v_lshrrev_b32_e32 v29, 16, v15
	v_add_co_ci_u32_e32 v10, vcc_lo, 0, v10, vcc_lo
	v_cmp_ne_u32_e32 vcc_lo, 0, v21
	v_mul_f64 v[23:24], v[23:24], s[2:3]
	v_cndmask_b32_e64 v21, 0, 1, vcc_lo
	v_cmp_gt_i32_e32 vcc_lo, 1, v12
	v_cndmask_b32_e32 v3, v16, v3, vcc_lo
	v_cmp_gt_i32_e32 vcc_lo, 31, v35
	v_and_b32_e32 v16, 7, v3
	v_cndmask_b32_e32 v8, 0x7c00, v10, vcc_lo
	v_cmp_ne_u32_e32 vcc_lo, 0, v19
	v_lshl_or_b32 v10, v21, 9, 0x7c00
	v_lshrrev_b32_e32 v21, 8, v20
	v_cmp_eq_u32_e64 s0, 3, v16
	v_lshrrev_b32_e32 v3, 2, v3
	v_cndmask_b32_e64 v19, 0, 1, vcc_lo
	v_cmp_eq_u32_e32 vcc_lo, 0x40f, v35
	v_and_or_b32 v23, 0x1ff, v24, v23
	v_lshrrev_b32_e32 v32, 8, v24
	v_bfe_u32 v33, v24, 20, 11
	v_cndmask_b32_e32 v8, v8, v10, vcc_lo
	v_cmp_lt_i32_e32 vcc_lo, 5, v16
	v_and_or_b32 v10, 0xffe, v21, v19
	v_sub_nc_u32_e32 v19, 0x3f1, v27
	v_lshrrev_b32_e32 v16, 16, v22
	s_or_b32 vcc_lo, s0, vcc_lo
	v_or_b32_e32 v21, 0x1000, v10
	v_add_co_ci_u32_e32 v3, vcc_lo, 0, v3, vcc_lo
	v_med3_i32 v19, v19, 0, 13
	v_cmp_ne_u32_e32 vcc_lo, 0, v31
	v_mul_f16_sdwa v31, v98, v29 dst_sel:DWORD dst_unused:UNUSED_PAD src0_sel:WORD_1 src1_sel:DWORD
	v_and_or_b32 v8, 0x8000, v16, v8
	v_lshrrev_b32_e32 v22, v19, v21
	v_cndmask_b32_e64 v28, 0, 1, vcc_lo
	v_cmp_gt_i32_e32 vcc_lo, 31, v12
	v_fmac_f16_e32 v31, v98, v15
	v_mul_f16_sdwa v15, v98, v15 dst_sel:DWORD dst_unused:UNUSED_PAD src0_sel:WORD_1 src1_sel:DWORD
	v_lshlrev_b32_e32 v19, v19, v22
	v_lshl_or_b32 v28, v28, 9, 0x7c00
	v_cndmask_b32_e32 v3, 0x7c00, v3, vcc_lo
	v_cmp_ne_u32_e32 vcc_lo, 0, v23
	v_fma_f16 v1, v98, v29, -v15
	v_and_b32_e32 v8, 0xffff, v8
	v_cndmask_b32_e64 v23, 0, 1, vcc_lo
	v_cmp_ne_u32_e32 vcc_lo, v19, v21
	v_cvt_f32_f16_e32 v21, v31
	v_add_nc_u32_e32 v31, 0xfffffc10, v27
	v_sub_nc_u32_e32 v27, 0x3f1, v33
	v_and_or_b32 v23, 0xffe, v32, v23
	v_cndmask_b32_e64 v19, 0, 1, vcc_lo
	v_cmp_eq_u32_e32 vcc_lo, 0x40f, v12
	v_lshl_or_b32 v32, v31, 12, v10
	v_med3_i32 v35, v27, 0, 13
	v_or_b32_e32 v34, 0x1000, v23
	v_or_b32_e32 v19, v22, v19
	v_cvt_f64_f32_e32 v[21:22], v21
	v_cndmask_b32_e32 v3, v3, v28, vcc_lo
	v_cmp_gt_i32_e32 vcc_lo, 1, v31
	v_lshrrev_b32_e32 v16, v35, v34
	v_lshrrev_b32_e32 v12, 16, v30
	v_cvt_f32_f16_e32 v1, v1
	v_cndmask_b32_e32 v19, v32, v19, vcc_lo
	v_lshlrev_b32_e32 v30, v35, v16
	v_and_or_b32 v3, 0x8000, v12, v3
	v_add_co_u32 v27, vcc_lo, v25, s5
	v_and_b32_e32 v12, 7, v19
	v_cmp_ne_u32_e64 s0, v30, v34
	v_add_co_ci_u32_e32 v28, vcc_lo, s4, v26, vcc_lo
	v_cvt_f64_f32_e32 v[25:26], v1
	v_cmp_lt_i32_e32 vcc_lo, 5, v12
	v_cndmask_b32_e64 v15, 0, 1, s0
	v_cmp_eq_u32_e64 s0, 3, v12
	v_lshrrev_b32_e32 v12, 2, v19
	v_add_nc_u32_e32 v32, 0xfffffc10, v33
	v_mul_f64 v[21:22], v[21:22], s[2:3]
	v_or_b32_e32 v19, v16, v15
	s_or_b32 vcc_lo, s0, vcc_lo
	ds_read2_b32 v[15:16], v99 offset0:48 offset1:168
	v_add_co_ci_u32_e32 v1, vcc_lo, 0, v12, vcc_lo
	v_cmp_ne_u32_e32 vcc_lo, 0, v10
	v_lshl_or_b32 v29, v32, 12, v23
	v_lshl_or_b32 v3, v3, 16, v8
	s_mul_i32 s0, s9, 0xffffcf40
	v_lshrrev_b32_e32 v35, 16, v20
	v_cndmask_b32_e64 v10, 0, 1, vcc_lo
	v_cmp_gt_i32_e32 vcc_lo, 1, v32
	s_sub_i32 s6, s0, s8
	v_lshl_or_b32 v8, v10, 9, 0x7c00
	v_cndmask_b32_e32 v12, v29, v19, vcc_lo
	v_cmp_gt_i32_e32 vcc_lo, 31, v31
	v_mul_f64 v[25:26], v[25:26], s[2:3]
	v_mad_u64_u32 v[29:30], null, 0xffffcf40, s8, v[27:28]
	v_and_or_b32 v19, 0x1ff, v22, v21
	v_cndmask_b32_e32 v1, 0x7c00, v1, vcc_lo
	v_and_b32_e32 v10, 7, v12
	v_cmp_eq_u32_e32 vcc_lo, 0x40f, v31
	s_waitcnt lgkmcnt(0)
	v_lshrrev_b32_e32 v21, 16, v15
	v_cmp_ne_u32_e64 s1, 0, v19
	v_bfe_u32 v31, v22, 20, 11
	v_cmp_eq_u32_e64 s0, 3, v10
	v_cndmask_b32_e32 v1, v1, v8, vcc_lo
	v_cmp_lt_i32_e32 vcc_lo, 5, v10
	v_lshrrev_b32_e32 v8, 2, v12
	v_cndmask_b32_e64 v10, 0, 1, s1
	v_lshrrev_b32_e32 v12, 8, v22
	v_mul_f16_sdwa v19, v97, v21 dst_sel:DWORD dst_unused:UNUSED_PAD src0_sel:WORD_1 src1_sel:DWORD
	s_or_b32 vcc_lo, s0, vcc_lo
	v_and_or_b32 v1, 0x8000, v35, v1
	v_add_co_ci_u32_e32 v8, vcc_lo, 0, v8, vcc_lo
	v_and_or_b32 v10, 0xffe, v12, v10
	v_sub_nc_u32_e32 v12, 0x3f1, v31
	v_cmp_ne_u32_e32 vcc_lo, 0, v23
	v_fmac_f16_e32 v19, v97, v15
	v_and_or_b32 v25, 0x1ff, v26, v25
	v_or_b32_e32 v33, 0x1000, v10
	v_med3_i32 v12, v12, 0, 13
	v_cndmask_b32_e64 v23, 0, 1, vcc_lo
	v_cmp_gt_i32_e32 vcc_lo, 31, v32
	v_cvt_f32_f16_e32 v19, v19
	v_bfe_u32 v35, v26, 20, 11
	v_lshrrev_b32_e32 v34, v12, v33
	v_lshl_or_b32 v23, v23, 9, 0x7c00
	v_cndmask_b32_e32 v8, 0x7c00, v8, vcc_lo
	v_cmp_eq_u32_e32 vcc_lo, 0x40f, v32
	v_cvt_f64_f32_e32 v[19:20], v19
	v_lshlrev_b32_e32 v12, v12, v34
	v_mul_f16_sdwa v15, v97, v15 dst_sel:DWORD dst_unused:UNUSED_PAD src0_sel:WORD_1 src1_sel:DWORD
	v_and_b32_e32 v1, 0xffff, v1
	v_cndmask_b32_e32 v8, v8, v23, vcc_lo
	v_cmp_ne_u32_e32 vcc_lo, 0, v25
	v_lshrrev_b32_e32 v23, 16, v24
	v_lshrrev_b32_e32 v25, 8, v26
	v_fma_f16 v15, v97, v21, -v15
	v_add_nc_u32_e32 v30, s6, v30
	v_cndmask_b32_e64 v24, 0, 1, vcc_lo
	v_cmp_ne_u32_e32 vcc_lo, v12, v33
	v_and_or_b32 v8, 0x8000, v23, v8
	v_sub_nc_u32_e32 v23, 0x3f1, v35
	v_add_nc_u32_e32 v33, 0xfffffc10, v31
	v_and_or_b32 v25, 0xffe, v25, v24
	v_cndmask_b32_e64 v12, 0, 1, vcc_lo
	v_lshl_or_b32 v1, v8, 16, v1
	v_med3_i32 v36, v23, 0, 13
	v_lshl_or_b32 v23, v33, 12, v10
	v_cmp_gt_i32_e32 vcc_lo, 1, v33
	v_or_b32_e32 v12, v34, v12
	v_or_b32_e32 v34, 0x1000, v25
	v_mul_f64 v[19:20], v[19:20], s[2:3]
	v_cvt_f32_f16_e32 v15, v15
	v_cmp_eq_u32_e64 s1, 0x40f, v33
	v_cndmask_b32_e32 v12, v23, v12, vcc_lo
	v_lshrrev_b32_e32 v8, v36, v34
	v_add_co_u32 v23, vcc_lo, v29, s5
	v_cvt_f64_f32_e32 v[31:32], v15
	v_and_b32_e32 v15, 7, v12
	v_lshlrev_b32_e32 v21, v36, v8
	v_add_co_ci_u32_e32 v24, vcc_lo, s4, v30, vcc_lo
	global_store_dword v[27:28], v5, off
	global_store_dword v[29:30], v3, off
	;; [unrolled: 1-line block ×3, first 2 shown]
	v_cmp_ne_u32_e64 s0, v21, v34
	v_cmp_lt_i32_e32 vcc_lo, 5, v15
	v_lshrrev_b32_e32 v5, 2, v12
	v_add_nc_u32_e32 v3, 0xfffffc10, v35
	v_cndmask_b32_e64 v1, 0, 1, s0
	v_cmp_eq_u32_e64 s0, 3, v15
	v_and_or_b32 v12, 0x1ff, v20, v19
	v_bfe_u32 v15, v20, 20, 11
	v_or_b32_e32 v1, v8, v1
	s_or_b32 vcc_lo, s0, vcc_lo
	v_lshl_or_b32 v8, v3, 12, v25
	v_add_co_ci_u32_e32 v5, vcc_lo, 0, v5, vcc_lo
	v_cmp_gt_i32_e32 vcc_lo, 1, v3
	v_mul_f64 v[27:28], v[31:32], s[2:3]
	v_lshrrev_b32_e32 v31, 16, v14
	v_cndmask_b32_e32 v1, v8, v1, vcc_lo
	v_cmp_ne_u32_e32 vcc_lo, 0, v12
	v_lshrrev_b32_e32 v12, 8, v20
	v_lshrrev_b32_e32 v20, 16, v20
	v_and_b32_e32 v19, 7, v1
	v_cndmask_b32_e64 v8, 0, 1, vcc_lo
	v_cmp_ne_u32_e32 vcc_lo, 0, v10
	v_lshrrev_b32_e32 v1, 2, v1
	v_cmp_eq_u32_e64 s0, 3, v19
	v_and_or_b32 v8, 0xffe, v12, v8
	v_cndmask_b32_e64 v10, 0, 1, vcc_lo
	v_cmp_gt_i32_e32 vcc_lo, 31, v33
	v_sub_nc_u32_e32 v12, 0x3f1, v15
	v_or_b32_e32 v21, 0x1000, v8
	v_lshl_or_b32 v10, v10, 9, 0x7c00
	v_cndmask_b32_e32 v5, 0x7c00, v5, vcc_lo
	v_cmp_lt_i32_e32 vcc_lo, 5, v19
	v_med3_i32 v12, v12, 0, 13
	v_and_or_b32 v27, 0x1ff, v28, v27
	v_lshrrev_b32_e32 v32, 8, v28
	v_cndmask_b32_e64 v5, v5, v10, s1
	s_or_b32 vcc_lo, s0, vcc_lo
	v_mul_f16_sdwa v10, v95, v31 dst_sel:DWORD dst_unused:UNUSED_PAD src0_sel:WORD_1 src1_sel:DWORD
	v_add_co_ci_u32_e32 v1, vcc_lo, 0, v1, vcc_lo
	v_cmp_ne_u32_e32 vcc_lo, 0, v25
	v_lshrrev_b32_e32 v19, v12, v21
	v_fmac_f16_e32 v10, v95, v14
	v_bfe_u32 v33, v28, 20, 11
	v_mul_f16_sdwa v14, v95, v14 dst_sel:DWORD dst_unused:UNUSED_PAD src0_sel:WORD_1 src1_sel:DWORD
	v_cndmask_b32_e64 v25, 0, 1, vcc_lo
	v_cmp_ne_u32_e32 vcc_lo, 0, v27
	v_lshlrev_b32_e32 v12, v12, v19
	v_cvt_f32_f16_e32 v10, v10
	v_fma_f16 v14, v95, v31, -v14
	v_cndmask_b32_e64 v27, 0, 1, vcc_lo
	v_cmp_gt_i32_e32 vcc_lo, 31, v3
	v_cvt_f64_f32_e32 v[29:30], v10
	v_cvt_f32_f16_e32 v14, v14
	v_and_or_b32 v10, 0xffe, v32, v27
	v_cndmask_b32_e32 v1, 0x7c00, v1, vcc_lo
	v_cmp_ne_u32_e32 vcc_lo, v12, v21
	v_sub_nc_u32_e32 v27, 0x3f1, v33
	v_add_nc_u32_e32 v32, 0xfffffc10, v15
	v_lshl_or_b32 v15, v25, 9, 0x7c00
	v_or_b32_e32 v34, 0x1000, v10
	v_cndmask_b32_e64 v12, 0, 1, vcc_lo
	v_med3_i32 v25, v27, 0, 13
	v_cmp_gt_i32_e32 vcc_lo, 1, v32
	v_lshrrev_b32_e32 v27, 16, v22
	v_or_b32_e32 v12, v19, v12
	v_lshl_or_b32 v19, v32, 12, v8
	v_lshrrev_b32_e32 v35, v25, v34
	v_and_or_b32 v5, 0x8000, v27, v5
	v_add_nc_u32_e32 v27, 0xfffffc10, v33
	v_cndmask_b32_e32 v12, v19, v12, vcc_lo
	v_cmp_eq_u32_e32 vcc_lo, 0x40f, v3
	v_lshrrev_b32_e32 v3, 16, v26
	v_mul_f64 v[21:22], v[29:30], s[2:3]
	v_and_b32_e32 v5, 0xffff, v5
	v_and_b32_e32 v19, 7, v12
	v_cndmask_b32_e32 v1, v1, v15, vcc_lo
	v_lshlrev_b32_e32 v15, v25, v35
	v_cvt_f64_f32_e32 v[25:26], v14
	v_lshrrev_b32_e32 v12, 2, v12
	v_cmp_lt_i32_e32 vcc_lo, 5, v19
	v_and_or_b32 v1, 0x8000, v3, v1
	v_cmp_ne_u32_e64 s0, v15, v34
	ds_read2_b32 v[14:15], v96 offset0:128 offset1:248
	v_lshl_or_b32 v1, v1, 16, v5
	v_cndmask_b32_e64 v3, 0, 1, s0
	v_cmp_eq_u32_e64 s0, 3, v19
	v_lshl_or_b32 v19, v27, 12, v10
	v_or_b32_e32 v3, v35, v3
	s_or_b32 vcc_lo, s0, vcc_lo
	v_add_co_ci_u32_e32 v12, vcc_lo, 0, v12, vcc_lo
	v_cmp_ne_u32_e32 vcc_lo, 0, v8
	v_lshrrev_b32_e32 v29, 8, v22
	v_bfe_u32 v31, v22, 20, 11
	v_mul_f64 v[25:26], v[25:26], s[2:3]
	v_cndmask_b32_e64 v8, 0, 1, vcc_lo
	v_cmp_gt_i32_e32 vcc_lo, 1, v27
	v_lshl_or_b32 v8, v8, 9, 0x7c00
	v_cndmask_b32_e32 v3, v19, v3, vcc_lo
	v_and_or_b32 v19, 0x1ff, v22, v21
	v_cmp_gt_i32_e32 vcc_lo, 31, v32
	s_waitcnt lgkmcnt(0)
	v_lshrrev_b32_e32 v21, 16, v14
	v_lshrrev_b32_e32 v22, 16, v22
	v_cndmask_b32_e32 v5, 0x7c00, v12, vcc_lo
	v_cmp_ne_u32_e32 vcc_lo, 0, v19
	v_mul_f16_sdwa v30, v92, v21 dst_sel:DWORD dst_unused:UNUSED_PAD src0_sel:WORD_1 src1_sel:DWORD
	v_and_b32_e32 v12, 7, v3
	v_lshrrev_b32_e32 v3, 2, v3
	v_cndmask_b32_e64 v19, 0, 1, vcc_lo
	v_add_co_u32 v23, vcc_lo, v23, s5
	v_add_co_ci_u32_e32 v24, vcc_lo, s4, v24, vcc_lo
	v_and_or_b32 v33, 0xffe, v29, v19
	v_sub_nc_u32_e32 v19, 0x3f1, v31
	v_cmp_eq_u32_e32 vcc_lo, 0x40f, v32
	v_fmac_f16_e32 v30, v92, v14
	v_cmp_eq_u32_e64 s0, 3, v12
	v_and_or_b32 v25, 0x1ff, v26, v25
	v_med3_i32 v19, v19, 0, 13
	v_cndmask_b32_e32 v5, v5, v8, vcc_lo
	v_or_b32_e32 v8, 0x1000, v33
	v_cmp_lt_i32_e32 vcc_lo, 5, v12
	v_cvt_f32_f16_e32 v29, v30
	v_cmp_ne_u32_e64 s1, 0, v25
	v_lshrrev_b32_e32 v32, 8, v26
	v_lshrrev_b32_e32 v12, v19, v8
	s_or_b32 vcc_lo, s0, vcc_lo
	v_cvt_f64_f32_e32 v[29:30], v29
	v_add_co_ci_u32_e32 v3, vcc_lo, 0, v3, vcc_lo
	v_lshlrev_b32_e32 v19, v19, v12
	v_cmp_ne_u32_e32 vcc_lo, 0, v10
	v_cndmask_b32_e64 v25, 0, 1, s1
	v_bfe_u32 v34, v26, 20, 11
	v_add_nc_u32_e32 v31, 0xfffffc10, v31
	v_and_or_b32 v5, 0x8000, v20, v5
	v_cndmask_b32_e64 v10, 0, 1, vcc_lo
	v_cmp_ne_u32_e32 vcc_lo, v19, v8
	v_and_or_b32 v25, 0xffe, v32, v25
	v_sub_nc_u32_e32 v32, 0x3f1, v34
	v_and_b32_e32 v5, 0xffff, v5
	v_lshl_or_b32 v10, v10, 9, 0x7c00
	v_cndmask_b32_e64 v8, 0, 1, vcc_lo
	v_or_b32_e32 v19, 0x1000, v25
	v_med3_i32 v32, v32, 0, 13
	v_cmp_gt_i32_e32 vcc_lo, 31, v27
	v_or_b32_e32 v8, v12, v8
	v_mul_f16_sdwa v12, v92, v14 dst_sel:DWORD dst_unused:UNUSED_PAD src0_sel:WORD_1 src1_sel:DWORD
	v_lshrrev_b32_e32 v35, v32, v19
	v_cndmask_b32_e32 v3, 0x7c00, v3, vcc_lo
	v_lshl_or_b32 v14, v31, 12, v33
	v_cmp_gt_i32_e32 vcc_lo, 1, v31
	v_mul_f64 v[29:30], v[29:30], s[2:3]
	v_fma_f16 v12, v92, v21, -v12
	v_lshlrev_b32_e32 v32, v32, v35
	v_cndmask_b32_e32 v8, v14, v8, vcc_lo
	v_cmp_eq_u32_e32 vcc_lo, 0x40f, v27
	v_cvt_f32_f16_e32 v12, v12
	v_and_b32_e32 v14, 7, v8
	v_cndmask_b32_e32 v3, v3, v10, vcc_lo
	v_cmp_ne_u32_e32 vcc_lo, v32, v19
	v_cvt_f64_f32_e32 v[19:20], v12
	v_lshrrev_b32_e32 v8, 2, v8
	v_cmp_eq_u32_e64 s0, 3, v14
	v_lshrrev_b32_e32 v10, 16, v28
	v_cndmask_b32_e64 v21, 0, 1, vcc_lo
	v_cmp_lt_i32_e32 vcc_lo, 5, v14
	v_add_nc_u32_e32 v12, 0xfffffc10, v34
	v_and_or_b32 v3, 0x8000, v10, v3
	v_or_b32_e32 v10, v35, v21
	s_or_b32 vcc_lo, s0, vcc_lo
	v_lshl_or_b32 v14, v12, 12, v25
	v_add_co_ci_u32_e32 v8, vcc_lo, 0, v8, vcc_lo
	v_and_or_b32 v21, 0x1ff, v30, v29
	v_cmp_gt_i32_e64 s1, 1, v12
	v_cmp_ne_u32_e32 vcc_lo, 0, v33
	v_lshrrev_b32_e32 v28, 8, v30
	v_bfe_u32 v29, v30, 20, 11
	v_lshl_or_b32 v3, v3, 16, v5
	v_cndmask_b32_e64 v10, v14, v10, s1
	v_cndmask_b32_e64 v14, 0, 1, vcc_lo
	v_cmp_ne_u32_e32 vcc_lo, 0, v21
	v_mul_f64 v[19:20], v[19:20], s[2:3]
	v_and_b32_e32 v27, 7, v10
	v_lshrrev_b32_e32 v10, 2, v10
	v_cndmask_b32_e64 v21, 0, 1, vcc_lo
	v_cmp_gt_i32_e32 vcc_lo, 31, v31
	v_lshl_or_b32 v14, v14, 9, 0x7c00
	v_cmp_eq_u32_e64 s0, 3, v27
	v_and_or_b32 v28, 0xffe, v28, v21
	v_cndmask_b32_e32 v8, 0x7c00, v8, vcc_lo
	v_cmp_lt_i32_e32 vcc_lo, 5, v27
	v_sub_nc_u32_e32 v21, 0x3f1, v29
	v_or_b32_e32 v27, 0x1000, v28
	s_or_b32 vcc_lo, s0, vcc_lo
	v_med3_i32 v21, v21, 0, 13
	v_add_co_ci_u32_e32 v10, vcc_lo, 0, v10, vcc_lo
	v_cmp_eq_u32_e32 vcc_lo, 0x40f, v31
	v_lshrrev_b32_e32 v31, 16, v9
	v_lshrrev_b32_e32 v32, v21, v27
	v_and_or_b32 v19, 0x1ff, v20, v19
	v_bfe_u32 v33, v20, 20, 11
	v_cndmask_b32_e32 v8, v8, v14, vcc_lo
	v_cmp_ne_u32_e32 vcc_lo, 0, v25
	v_lshlrev_b32_e32 v21, v21, v32
	v_and_or_b32 v5, 0x8000, v22, v8
	v_cndmask_b32_e64 v14, 0, 1, vcc_lo
	v_cmp_gt_i32_e32 vcc_lo, 31, v12
	v_mul_f16_sdwa v8, v93, v31 dst_sel:DWORD dst_unused:UNUSED_PAD src0_sel:WORD_1 src1_sel:DWORD
	v_lshrrev_b32_e32 v22, 8, v20
	v_and_b32_e32 v5, 0xffff, v5
	v_lshl_or_b32 v14, v14, 9, 0x7c00
	v_cndmask_b32_e32 v10, 0x7c00, v10, vcc_lo
	v_cmp_ne_u32_e32 vcc_lo, 0, v19
	v_fmac_f16_e32 v8, v93, v9
	v_cndmask_b32_e64 v19, 0, 1, vcc_lo
	v_cmp_ne_u32_e32 vcc_lo, v21, v27
	v_cvt_f32_f16_e32 v8, v8
	v_add_nc_u32_e32 v27, 0xfffffc10, v29
	v_and_or_b32 v19, 0xffe, v22, v19
	v_cndmask_b32_e64 v21, 0, 1, vcc_lo
	v_sub_nc_u32_e32 v22, 0x3f1, v33
	v_cmp_eq_u32_e32 vcc_lo, 0x40f, v12
	v_lshl_or_b32 v29, v27, 12, v28
	v_or_b32_e32 v25, v32, v21
	v_or_b32_e32 v32, 0x1000, v19
	v_med3_i32 v34, v22, 0, 13
	v_cvt_f64_f32_e32 v[21:22], v8
	v_cndmask_b32_e32 v8, v10, v14, vcc_lo
	v_cmp_gt_i32_e32 vcc_lo, 1, v27
	v_lshrrev_b32_e32 v10, 16, v26
	v_lshrrev_b32_e32 v14, v34, v32
	v_cndmask_b32_e32 v12, v29, v25, vcc_lo
	v_add_co_u32 v25, vcc_lo, v23, s5
	v_lshlrev_b32_e32 v29, v34, v14
	v_and_or_b32 v10, 0x8000, v10, v8
	v_mul_f16_sdwa v8, v93, v9 dst_sel:DWORD dst_unused:UNUSED_PAD src0_sel:WORD_1 src1_sel:DWORD
	v_add_co_ci_u32_e32 v26, vcc_lo, s4, v24, vcc_lo
	v_cmp_ne_u32_e32 vcc_lo, v29, v32
	global_store_dword v[23:24], v1, off
	global_store_dword v[25:26], v3, off
	v_fma_f16 v1, v93, v31, -v8
	v_add_nc_u32_e32 v31, 0xfffffc10, v33
	v_cndmask_b32_e64 v3, 0, 1, vcc_lo
	v_and_b32_e32 v9, 7, v12
	v_mul_f64 v[21:22], v[21:22], s[2:3]
	v_cvt_f32_f16_e32 v1, v1
	v_lshl_or_b32 v8, v31, 12, v19
	v_or_b32_e32 v3, v14, v3
	v_cmp_gt_i32_e64 s1, 1, v31
	v_cmp_lt_i32_e32 vcc_lo, 5, v9
	v_cmp_eq_u32_e64 s0, 3, v9
	v_cvt_f64_f32_e32 v[23:24], v1
	v_lshrrev_b32_e32 v12, 2, v12
	v_cndmask_b32_e64 v1, v8, v3, s1
	ds_read2_b32 v[8:9], v94 offset0:80 offset1:200
	s_or_b32 vcc_lo, s0, vcc_lo
	v_add_co_u32 v25, s1, v25, s5
	v_add_co_ci_u32_e32 v3, vcc_lo, 0, v12, vcc_lo
	v_cmp_ne_u32_e32 vcc_lo, 0, v28
	v_add_co_ci_u32_e64 v26, s1, s4, v26, s1
	v_lshl_or_b32 v5, v10, 16, v5
	v_cmp_eq_u32_e64 s1, 0x40f, v27
	v_cndmask_b32_e64 v12, 0, 1, vcc_lo
	v_cmp_gt_i32_e32 vcc_lo, 31, v27
	v_and_b32_e32 v14, 7, v1
	v_lshrrev_b32_e32 v1, 2, v1
	v_lshrrev_b32_e32 v33, 16, v30
	v_lshl_or_b32 v10, v12, 9, 0x7c00
	v_cndmask_b32_e32 v3, 0x7c00, v3, vcc_lo
	v_and_or_b32 v12, 0x1ff, v22, v21
	v_mul_f64 v[23:24], v[23:24], s[2:3]
	v_cmp_lt_i32_e32 vcc_lo, 5, v14
	v_cmp_eq_u32_e64 s0, 3, v14
	v_cndmask_b32_e64 v3, v3, v10, s1
	s_waitcnt lgkmcnt(0)
	v_lshrrev_b32_e32 v10, 16, v8
	v_cmp_ne_u32_e64 s1, 0, v12
	v_lshrrev_b32_e32 v14, 8, v22
	v_bfe_u32 v21, v22, 20, 11
	s_or_b32 vcc_lo, s0, vcc_lo
	v_mul_f16_sdwa v27, v91, v10 dst_sel:DWORD dst_unused:UNUSED_PAD src0_sel:WORD_1 src1_sel:DWORD
	v_cndmask_b32_e64 v12, 0, 1, s1
	v_add_co_ci_u32_e32 v1, vcc_lo, 0, v1, vcc_lo
	v_cmp_ne_u32_e32 vcc_lo, 0, v19
	v_fmac_f16_e32 v27, v91, v8
	v_and_or_b32 v12, 0xffe, v14, v12
	v_sub_nc_u32_e32 v14, 0x3f1, v21
	v_and_or_b32 v3, 0x8000, v33, v3
	v_cndmask_b32_e64 v19, 0, 1, vcc_lo
	v_cvt_f32_f16_e32 v27, v27
	v_or_b32_e32 v32, 0x1000, v12
	v_med3_i32 v14, v14, 0, 13
	v_cmp_gt_i32_e32 vcc_lo, 31, v31
	v_lshl_or_b32 v19, v19, 9, 0x7c00
	v_cvt_f64_f32_e32 v[27:28], v27
	v_and_or_b32 v23, 0x1ff, v24, v23
	v_lshrrev_b32_e32 v34, v14, v32
	v_cndmask_b32_e32 v1, 0x7c00, v1, vcc_lo
	v_cmp_eq_u32_e32 vcc_lo, 0x40f, v31
	v_bfe_u32 v31, v24, 20, 11
	v_mad_u64_u32 v[29:30], null, s8, v88, 0
	v_lshlrev_b32_e32 v14, v14, v34
	v_cndmask_b32_e32 v1, v1, v19, vcc_lo
	v_cmp_ne_u32_e32 vcc_lo, 0, v23
	v_lshrrev_b32_e32 v19, 16, v20
	v_lshrrev_b32_e32 v23, 8, v24
	v_add_nc_u32_e32 v21, 0xfffffc10, v21
	v_mul_f16_sdwa v8, v91, v8 dst_sel:DWORD dst_unused:UNUSED_PAD src0_sel:WORD_1 src1_sel:DWORD
	v_cndmask_b32_e64 v20, 0, 1, vcc_lo
	v_cmp_ne_u32_e32 vcc_lo, v14, v32
	v_and_or_b32 v33, 0x8000, v19, v1
	v_sub_nc_u32_e32 v19, 0x3f1, v31
	v_mov_b32_e32 v1, v30
	v_and_or_b32 v23, 0xffe, v23, v20
	v_cndmask_b32_e64 v14, 0, 1, vcc_lo
	v_lshl_or_b32 v30, v21, 12, v12
	v_cmp_gt_i32_e32 vcc_lo, 1, v21
	v_fma_f16 v8, v91, v10, -v8
	v_or_b32_e32 v32, 0x1000, v23
	v_or_b32_e32 v14, v34, v14
	v_med3_i32 v34, v19, 0, 13
	v_mul_f64 v[19:20], v[27:28], s[2:3]
	v_mad_u64_u32 v[27:28], null, s9, v88, v[1:2]
	v_cndmask_b32_e32 v1, v30, v14, vcc_lo
	global_store_dword v[25:26], v5, off
	v_lshrrev_b32_e32 v14, v34, v32
	v_cvt_f32_f16_e32 v8, v8
	v_and_b32_e32 v3, 0xffff, v3
	v_and_b32_e32 v5, 7, v1
	v_lshrrev_b32_e32 v1, 2, v1
	v_lshlrev_b32_e32 v10, v34, v14
	v_mov_b32_e32 v30, v27
	v_cvt_f64_f32_e32 v[27:28], v8
	v_cmp_lt_i32_e32 vcc_lo, 5, v5
	v_cmp_eq_u32_e64 s0, 3, v5
	v_cmp_ne_u32_e64 s1, v10, v32
	v_add_nc_u32_e32 v10, 0xfffffc10, v31
	v_lshl_or_b32 v3, v33, 16, v3
	v_lshrrev_b32_e32 v33, 16, v11
	s_or_b32 vcc_lo, s0, vcc_lo
	v_cndmask_b32_e64 v5, 0, 1, s1
	v_add_co_ci_u32_e32 v1, vcc_lo, 0, v1, vcc_lo
	v_and_or_b32 v8, 0x1ff, v20, v19
	v_lshrrev_b32_e32 v19, 8, v20
	v_or_b32_e32 v5, v14, v5
	v_lshl_or_b32 v14, v10, 12, v23
	v_bfe_u32 v31, v20, 20, 11
	v_cmp_ne_u32_e32 vcc_lo, 0, v8
	v_cmp_eq_u32_e64 s1, 0x40f, v21
	v_lshlrev_b64 v[29:30], 2, v[29:30]
	v_add_nc_u32_e32 v34, 0xfffffc10, v31
	v_cndmask_b32_e64 v8, 0, 1, vcc_lo
	v_cmp_ne_u32_e32 vcc_lo, 0, v12
	v_mul_f64 v[27:28], v[27:28], s[2:3]
	v_and_or_b32 v8, 0xffe, v19, v8
	v_cndmask_b32_e64 v12, 0, 1, vcc_lo
	v_cmp_gt_i32_e32 vcc_lo, 1, v10
	v_or_b32_e32 v32, 0x1000, v8
	v_lshl_or_b32 v12, v12, 9, 0x7c00
	v_cndmask_b32_e32 v5, v14, v5, vcc_lo
	v_cmp_gt_i32_e32 vcc_lo, 31, v21
	v_sub_nc_u32_e32 v14, 0x3f1, v31
	v_and_b32_e32 v19, 7, v5
	v_cndmask_b32_e32 v1, 0x7c00, v1, vcc_lo
	v_lshrrev_b32_e32 v5, 2, v5
	v_med3_i32 v14, v14, 0, 13
	v_cmp_lt_i32_e32 vcc_lo, 5, v19
	v_cmp_eq_u32_e64 s0, 3, v19
	v_cndmask_b32_e64 v1, v1, v12, s1
	v_lshrrev_b32_e32 v19, v14, v32
	v_lshrrev_b32_e32 v12, 16, v22
	v_and_or_b32 v22, 0x1ff, v28, v27
	s_or_b32 vcc_lo, s0, vcc_lo
	v_lshrrev_b32_e32 v31, 8, v28
	v_add_co_ci_u32_e32 v5, vcc_lo, 0, v5, vcc_lo
	v_cmp_ne_u32_e32 vcc_lo, 0, v23
	v_lshlrev_b32_e32 v14, v14, v19
	v_and_or_b32 v12, 0x8000, v12, v1
	v_mul_f16_sdwa v1, v89, v33 dst_sel:DWORD dst_unused:UNUSED_PAD src0_sel:WORD_1 src1_sel:DWORD
	v_cndmask_b32_e64 v21, 0, 1, vcc_lo
	v_cmp_gt_i32_e32 vcc_lo, 31, v10
	v_and_b32_e32 v12, 0xffff, v12
	v_fmac_f16_e32 v1, v89, v11
	v_mul_f16_sdwa v11, v89, v11 dst_sel:DWORD dst_unused:UNUSED_PAD src0_sel:WORD_1 src1_sel:DWORD
	v_lshl_or_b32 v23, v21, 9, 0x7c00
	v_cndmask_b32_e32 v5, 0x7c00, v5, vcc_lo
	v_cmp_ne_u32_e32 vcc_lo, v14, v32
	v_cvt_f32_f16_e32 v1, v1
	v_bfe_u32 v32, v28, 20, 11
	v_fma_f16 v11, v89, v33, -v11
	v_lshrrev_b32_e32 v28, 16, v28
	v_cndmask_b32_e64 v14, 0, 1, vcc_lo
	v_cmp_ne_u32_e32 vcc_lo, 0, v22
	v_cvt_f64_f32_e32 v[21:22], v1
	v_cvt_f32_f16_e32 v11, v11
	v_or_b32_e32 v14, v19, v14
	v_lshl_or_b32 v19, v34, 12, v8
	v_cndmask_b32_e64 v27, 0, 1, vcc_lo
	v_cmp_gt_i32_e32 vcc_lo, 1, v34
	v_cndmask_b32_e32 v1, v19, v14, vcc_lo
	v_and_or_b32 v14, 0xffe, v31, v27
	v_sub_nc_u32_e32 v19, 0x3f1, v32
	v_cmp_eq_u32_e32 vcc_lo, 0x40f, v10
	v_lshrrev_b32_e32 v10, 16, v24
	v_and_b32_e32 v27, 7, v1
	v_or_b32_e32 v31, 0x1000, v14
	v_med3_i32 v19, v19, 0, 13
	v_cndmask_b32_e32 v5, v5, v23, vcc_lo
	v_lshrrev_b32_e32 v1, 2, v1
	v_cmp_lt_i32_e32 vcc_lo, 5, v27
	v_cmp_eq_u32_e64 s0, 3, v27
	v_lshrrev_b32_e32 v35, v19, v31
	v_and_or_b32 v5, 0x8000, v10, v5
	v_mad_u64_u32 v[23:24], null, 0xb40, s8, v[25:26]
	s_or_b32 vcc_lo, s0, vcc_lo
	v_lshlrev_b32_e32 v10, v19, v35
	v_add_co_ci_u32_e32 v19, vcc_lo, 0, v1, vcc_lo
	v_cmp_ne_u32_e32 vcc_lo, 0, v8
	v_cvt_f64_f32_e32 v[25:26], v11
	v_mul_f64 v[21:22], v[21:22], s[2:3]
	v_add_nc_u32_e32 v27, 0xfffffc10, v32
	v_mov_b32_e32 v1, v24
	v_cndmask_b32_e64 v8, 0, 1, vcc_lo
	v_cmp_ne_u32_e32 vcc_lo, v10, v31
	v_lshl_or_b32 v5, v5, 16, v12
	v_lshl_or_b32 v33, v27, 12, v14
	v_mad_u64_u32 v[31:32], null, 0xb40, s9, v[1:2]
	v_cndmask_b32_e64 v10, 0, 1, vcc_lo
	v_cmp_gt_i32_e32 vcc_lo, 31, v34
	v_lshl_or_b32 v8, v8, 9, 0x7c00
	v_lshrrev_b32_e32 v32, 16, v20
	v_or_b32_e32 v24, v35, v10
	v_cndmask_b32_e32 v19, 0x7c00, v19, vcc_lo
	v_cmp_gt_i32_e32 vcc_lo, 1, v27
	ds_read2_b32 v[10:11], v90 offset0:32 offset1:152
	v_cndmask_b32_e32 v1, v33, v24, vcc_lo
	v_cmp_eq_u32_e32 vcc_lo, 0x40f, v34
	v_and_or_b32 v21, 0x1ff, v22, v21
	v_and_b32_e32 v24, 7, v1
	v_cndmask_b32_e32 v8, v19, v8, vcc_lo
	v_mul_f64 v[19:20], v[25:26], s[2:3]
	v_add_co_u32 v25, vcc_lo, v18, v29
	v_cmp_ne_u32_e64 s1, 0, v21
	v_add_co_ci_u32_e32 v26, vcc_lo, v17, v30, vcc_lo
	v_cmp_lt_i32_e32 vcc_lo, 5, v24
	v_cmp_eq_u32_e64 s0, 3, v24
	v_lshrrev_b32_e32 v1, 2, v1
	v_cndmask_b32_e64 v12, 0, 1, s1
	v_lshrrev_b32_e32 v17, 8, v22
	v_bfe_u32 v21, v22, 20, 11
	s_or_b32 vcc_lo, s0, vcc_lo
	s_waitcnt lgkmcnt(0)
	v_lshrrev_b32_e32 v29, 16, v10
	v_add_co_ci_u32_e32 v1, vcc_lo, 0, v1, vcc_lo
	v_and_or_b32 v12, 0xffe, v17, v12
	v_sub_nc_u32_e32 v17, 0x3f1, v21
	v_cmp_ne_u32_e32 vcc_lo, 0, v14
	v_mul_f16_sdwa v18, v87, v29 dst_sel:DWORD dst_unused:UNUSED_PAD src0_sel:WORD_1 src1_sel:DWORD
	v_mov_b32_e32 v24, v31
	v_or_b32_e32 v30, 0x1000, v12
	v_med3_i32 v17, v17, 0, 13
	v_and_or_b32 v19, 0x1ff, v20, v19
	v_cndmask_b32_e64 v14, 0, 1, vcc_lo
	v_cmp_gt_i32_e32 vcc_lo, 31, v27
	v_fmac_f16_e32 v18, v87, v10
	v_lshrrev_b32_e32 v31, v17, v30
	v_lshrrev_b32_e32 v34, 8, v20
	v_lshl_or_b32 v14, v14, 9, 0x7c00
	v_cndmask_b32_e32 v1, 0x7c00, v1, vcc_lo
	v_cmp_ne_u32_e32 vcc_lo, 0, v19
	v_lshlrev_b32_e32 v33, v17, v31
	v_bfe_u32 v35, v20, 20, 11
	v_cvt_f32_f16_e32 v18, v18
	v_add_nc_u32_e32 v21, 0xfffffc10, v21
	v_cndmask_b32_e64 v19, 0, 1, vcc_lo
	v_cmp_eq_u32_e32 vcc_lo, 0x40f, v27
	v_sub_nc_u32_e32 v27, 0x3f1, v35
	v_cvt_f64_f32_e32 v[17:18], v18
	v_mul_f16_sdwa v10, v87, v10 dst_sel:DWORD dst_unused:UNUSED_PAD src0_sel:WORD_1 src1_sel:DWORD
	global_store_dword v[25:26], v3, off
	global_store_dword v[23:24], v5, off
	v_cndmask_b32_e32 v1, v1, v14, vcc_lo
	v_and_or_b32 v14, 0xffe, v34, v19
	v_cmp_ne_u32_e32 vcc_lo, v33, v30
	v_med3_i32 v27, v27, 0, 13
	v_fma_f16 v10, v87, v29, -v10
	v_and_or_b32 v1, 0x8000, v28, v1
	v_or_b32_e32 v30, 0x1000, v14
	v_cndmask_b32_e64 v19, 0, 1, vcc_lo
	v_cmp_gt_i32_e32 vcc_lo, 1, v21
	v_cvt_f32_f16_e32 v3, v10
	v_and_or_b32 v8, 0x8000, v32, v8
	v_lshrrev_b32_e32 v28, v27, v30
	v_or_b32_e32 v19, v31, v19
	v_lshl_or_b32 v31, v21, 12, v12
	v_cvt_f64_f32_e32 v[25:26], v3
	v_and_b32_e32 v8, 0xffff, v8
	v_lshlrev_b32_e32 v27, v27, v28
	v_add_nc_u32_e32 v10, 0xfffffc10, v35
	v_cndmask_b32_e32 v19, v31, v19, vcc_lo
	v_mul_f64 v[17:18], v[17:18], s[2:3]
	v_lshl_or_b32 v1, v1, 16, v8
	v_cmp_ne_u32_e64 s0, v27, v30
	v_lshl_or_b32 v8, v10, 12, v14
	v_and_b32_e32 v29, 7, v19
	v_lshrrev_b32_e32 v3, 2, v19
	v_cndmask_b32_e64 v5, 0, 1, s0
	v_cmp_lt_i32_e32 vcc_lo, 5, v29
	v_cmp_eq_u32_e64 s0, 3, v29
	v_or_b32_e32 v5, v28, v5
	v_lshrrev_b32_e32 v28, 16, v6
	s_or_b32 vcc_lo, s0, vcc_lo
	v_add_co_ci_u32_e32 v3, vcc_lo, 0, v3, vcc_lo
	v_cmp_ne_u32_e32 vcc_lo, 0, v12
	v_mul_f64 v[25:26], v[25:26], s[2:3]
	v_and_or_b32 v17, 0x1ff, v18, v17
	v_lshrrev_b32_e32 v19, 8, v18
	v_cndmask_b32_e64 v12, 0, 1, vcc_lo
	v_cmp_gt_i32_e32 vcc_lo, 1, v10
	v_bfe_u32 v27, v18, 20, 11
	v_lshrrev_b32_e32 v18, 16, v18
	v_cndmask_b32_e32 v5, v8, v5, vcc_lo
	v_add_co_u32 v23, vcc_lo, v23, s5
	v_add_co_ci_u32_e32 v24, vcc_lo, s4, v24, vcc_lo
	v_cmp_gt_i32_e32 vcc_lo, 31, v21
	v_lshl_or_b32 v8, v12, 9, 0x7c00
	v_and_b32_e32 v12, 7, v5
	v_lshrrev_b32_e32 v5, 2, v5
	global_store_dword v[23:24], v1, off
	v_cndmask_b32_e32 v3, 0x7c00, v3, vcc_lo
	v_cmp_ne_u32_e32 vcc_lo, 0, v17
	v_cmp_eq_u32_e64 s0, 3, v12
	v_and_or_b32 v25, 0x1ff, v26, v25
	v_cndmask_b32_e64 v17, 0, 1, vcc_lo
	v_cmp_eq_u32_e32 vcc_lo, 0x40f, v21
	v_sub_nc_u32_e32 v21, 0x3f1, v27
	v_and_or_b32 v17, 0xffe, v19, v17
	v_cndmask_b32_e32 v3, v3, v8, vcc_lo
	v_cmp_lt_i32_e32 vcc_lo, 5, v12
	v_mul_f16_sdwa v19, v86, v28 dst_sel:DWORD dst_unused:UNUSED_PAD src0_sel:WORD_1 src1_sel:DWORD
	v_med3_i32 v29, v21, 0, 13
	v_or_b32_e32 v12, 0x1000, v17
	v_lshrrev_b32_e32 v8, 16, v22
	s_or_b32 vcc_lo, s0, vcc_lo
	v_fmac_f16_e32 v19, v86, v6
	v_add_co_ci_u32_e32 v5, vcc_lo, 0, v5, vcc_lo
	v_cmp_ne_u32_e32 vcc_lo, 0, v14
	v_lshrrev_b32_e32 v30, v29, v12
	v_cvt_f32_f16_e32 v19, v19
	v_and_or_b32 v3, 0x8000, v8, v3
	v_mul_f16_sdwa v6, v86, v6 dst_sel:DWORD dst_unused:UNUSED_PAD src0_sel:WORD_1 src1_sel:DWORD
	v_cndmask_b32_e64 v14, 0, 1, vcc_lo
	v_cmp_gt_i32_e32 vcc_lo, 31, v10
	v_cvt_f64_f32_e32 v[21:22], v19
	v_lshlrev_b32_e32 v19, v29, v30
	v_bfe_u32 v29, v26, 20, 11
	v_lshl_or_b32 v14, v14, 9, 0x7c00
	v_cndmask_b32_e32 v5, 0x7c00, v5, vcc_lo
	v_cmp_ne_u32_e32 vcc_lo, 0, v25
	v_lshrrev_b32_e32 v25, 8, v26
	v_and_b32_e32 v3, 0xffff, v3
	v_lshrrev_b32_e32 v26, 16, v26
	v_cndmask_b32_e64 v8, 0, 1, vcc_lo
	v_cmp_eq_u32_e32 vcc_lo, 0x40f, v10
	v_and_or_b32 v8, 0xffe, v25, v8
	v_cndmask_b32_e32 v5, v5, v14, vcc_lo
	v_cmp_ne_u32_e32 vcc_lo, v19, v12
	v_sub_nc_u32_e32 v12, 0x3f1, v29
	v_add_nc_u32_e32 v14, 0xfffffc10, v27
	v_lshrrev_b32_e32 v19, 16, v20
	v_or_b32_e32 v25, 0x1000, v8
	v_cndmask_b32_e64 v10, 0, 1, vcc_lo
	v_med3_i32 v12, v12, 0, 13
	v_lshl_or_b32 v27, v14, 12, v17
	v_cmp_gt_i32_e32 vcc_lo, 1, v14
	v_and_or_b32 v5, 0x8000, v19, v5
	v_or_b32_e32 v10, v30, v10
	v_mul_f64 v[19:20], v[21:22], s[2:3]
	v_lshrrev_b32_e32 v30, v12, v25
	v_fma_f16 v21, v86, v28, -v6
	v_lshl_or_b32 v1, v5, 16, v3
	v_cndmask_b32_e32 v10, v27, v10, vcc_lo
	v_add_co_u32 v5, vcc_lo, v23, s5
	v_lshlrev_b32_e32 v3, v12, v30
	v_add_co_ci_u32_e32 v6, vcc_lo, s4, v24, vcc_lo
	v_and_b32_e32 v12, 7, v10
	v_cvt_f32_f16_e32 v21, v21
	v_cmp_ne_u32_e64 s1, v3, v25
	v_lshrrev_b32_e32 v10, 2, v10
	v_lshrrev_b32_e32 v27, 16, v13
	v_cmp_lt_i32_e32 vcc_lo, 5, v12
	v_cmp_eq_u32_e64 s0, 3, v12
	v_cndmask_b32_e64 v3, 0, 1, s1
	v_add_nc_u32_e32 v12, 0xfffffc10, v29
	v_cvt_f64_f32_e32 v[21:22], v21
	v_mul_f16_sdwa v29, v85, v27 dst_sel:DWORD dst_unused:UNUSED_PAD src0_sel:WORD_1 src1_sel:DWORD
	s_or_b32 vcc_lo, s0, vcc_lo
	v_and_or_b32 v19, 0x1ff, v20, v19
	v_add_co_ci_u32_e32 v10, vcc_lo, 0, v10, vcc_lo
	v_or_b32_e32 v3, v30, v3
	v_lshl_or_b32 v23, v12, 12, v8
	v_cmp_gt_i32_e32 vcc_lo, 1, v12
	v_bfe_u32 v25, v20, 20, 11
	v_fmac_f16_e32 v29, v85, v13
	v_mul_f16_sdwa v13, v85, v13 dst_sel:DWORD dst_unused:UNUSED_PAD src0_sel:WORD_1 src1_sel:DWORD
	global_store_dword v[5:6], v1, off
	v_cndmask_b32_e32 v3, v23, v3, vcc_lo
	v_cmp_ne_u32_e32 vcc_lo, 0, v19
	v_lshrrev_b32_e32 v23, 8, v20
	v_fma_f16 v13, v85, v27, -v13
	v_and_b32_e32 v24, 7, v3
	v_cndmask_b32_e64 v19, 0, 1, vcc_lo
	v_cmp_ne_u32_e32 vcc_lo, 0, v17
	v_lshrrev_b32_e32 v3, 2, v3
	v_mul_f64 v[21:22], v[21:22], s[2:3]
	v_cmp_eq_u32_e64 s0, 3, v24
	v_and_or_b32 v19, 0xffe, v23, v19
	v_cndmask_b32_e64 v17, 0, 1, vcc_lo
	v_cmp_gt_i32_e32 vcc_lo, 31, v14
	v_sub_nc_u32_e32 v23, 0x3f1, v25
	v_or_b32_e32 v28, 0x1000, v19
	v_lshl_or_b32 v17, v17, 9, 0x7c00
	v_cndmask_b32_e32 v10, 0x7c00, v10, vcc_lo
	v_cmp_lt_i32_e32 vcc_lo, 5, v24
	v_med3_i32 v23, v23, 0, 13
	s_or_b32 vcc_lo, s0, vcc_lo
	v_lshrrev_b32_e32 v30, v23, v28
	v_add_co_ci_u32_e32 v3, vcc_lo, 0, v3, vcc_lo
	v_cmp_eq_u32_e32 vcc_lo, 0x40f, v14
	v_lshlrev_b32_e32 v31, v23, v30
	v_cvt_f32_f16_e32 v23, v29
	v_and_or_b32 v14, 0x1ff, v22, v21
	v_cndmask_b32_e32 v10, v10, v17, vcc_lo
	v_cmp_ne_u32_e32 vcc_lo, 0, v8
	v_add_nc_u32_e32 v21, 0xfffffc10, v25
	v_cvt_f64_f32_e32 v[23:24], v23
	v_lshrrev_b32_e32 v25, 8, v22
	v_and_or_b32 v10, 0x8000, v18, v10
	v_cndmask_b32_e64 v8, 0, 1, vcc_lo
	v_cmp_gt_i32_e32 vcc_lo, 31, v12
	v_and_b32_e32 v10, 0xffff, v10
	v_lshl_or_b32 v8, v8, 9, 0x7c00
	v_cndmask_b32_e32 v3, 0x7c00, v3, vcc_lo
	v_cmp_ne_u32_e32 vcc_lo, v31, v28
	v_bfe_u32 v28, v22, 20, 11
	v_cndmask_b32_e64 v17, 0, 1, vcc_lo
	v_cmp_ne_u32_e32 vcc_lo, 0, v14
	v_cndmask_b32_e64 v14, 0, 1, vcc_lo
	v_cmp_eq_u32_e32 vcc_lo, 0x40f, v12
	v_sub_nc_u32_e32 v12, 0x3f1, v28
	v_and_or_b32 v14, 0xffe, v25, v14
	v_cndmask_b32_e32 v3, v3, v8, vcc_lo
	v_or_b32_e32 v8, v30, v17
	v_lshl_or_b32 v25, v21, 12, v19
	v_cmp_gt_i32_e32 vcc_lo, 1, v21
	v_mul_f64 v[17:18], v[23:24], s[2:3]
	v_or_b32_e32 v29, 0x1000, v14
	v_med3_i32 v12, v12, 0, 13
	v_and_or_b32 v3, 0x8000, v26, v3
	v_cndmask_b32_e32 v8, v25, v8, vcc_lo
	v_lshrrev_b32_e32 v25, 16, v4
	v_lshrrev_b32_e32 v23, v12, v29
	v_lshl_or_b32 v1, v3, 16, v10
	v_and_b32_e32 v24, 7, v8
	v_lshrrev_b32_e32 v8, 2, v8
	v_cvt_f32_f16_e32 v3, v13
	v_lshlrev_b32_e32 v10, v12, v23
	v_cmp_lt_i32_e32 vcc_lo, 5, v24
	v_cmp_eq_u32_e64 s0, 3, v24
	v_cvt_f64_f32_e32 v[12:13], v3
	v_cmp_ne_u32_e64 s1, v10, v29
	v_add_nc_u32_e32 v10, 0xfffffc10, v28
	s_or_b32 vcc_lo, s0, vcc_lo
	v_add_co_ci_u32_e32 v8, vcc_lo, 0, v8, vcc_lo
	v_add_co_u32 v5, vcc_lo, v5, s5
	v_add_co_ci_u32_e32 v6, vcc_lo, s4, v6, vcc_lo
	v_and_or_b32 v17, 0x1ff, v18, v17
	v_cmp_ne_u32_e32 vcc_lo, 0, v19
	v_cndmask_b32_e64 v3, 0, 1, s1
	v_lshrrev_b32_e32 v24, 8, v18
	v_bfe_u32 v26, v18, 20, 11
	v_cmp_eq_u32_e64 s1, 0x40f, v21
	v_cndmask_b32_e64 v19, 0, 1, vcc_lo
	v_cmp_ne_u32_e32 vcc_lo, 0, v17
	v_or_b32_e32 v3, v23, v3
	v_lshl_or_b32 v23, v10, 12, v14
	v_mul_f64 v[12:13], v[12:13], s[2:3]
	v_lshl_or_b32 v19, v19, 9, 0x7c00
	v_cndmask_b32_e64 v17, 0, 1, vcc_lo
	v_cmp_gt_i32_e32 vcc_lo, 1, v10
	v_and_or_b32 v17, 0xffe, v24, v17
	v_cndmask_b32_e32 v3, v23, v3, vcc_lo
	v_cmp_gt_i32_e32 vcc_lo, 31, v21
	v_mul_f16_sdwa v23, v84, v25 dst_sel:DWORD dst_unused:UNUSED_PAD src0_sel:WORD_1 src1_sel:DWORD
	v_sub_nc_u32_e32 v24, 0x3f1, v26
	v_or_b32_e32 v28, 0x1000, v17
	v_and_b32_e32 v27, 7, v3
	v_cndmask_b32_e32 v8, 0x7c00, v8, vcc_lo
	v_fmac_f16_e32 v23, v84, v4
	v_lshrrev_b32_e32 v3, 2, v3
	v_med3_i32 v29, v24, 0, 13
	v_cmp_lt_i32_e32 vcc_lo, 5, v27
	v_cmp_eq_u32_e64 s0, 3, v27
	v_cvt_f32_f16_e32 v23, v23
	v_cndmask_b32_e64 v8, v8, v19, s1
	v_lshrrev_b32_e32 v27, v29, v28
	v_and_or_b32 v12, 0x1ff, v13, v12
	s_or_b32 vcc_lo, s0, vcc_lo
	v_cvt_f64_f32_e32 v[23:24], v23
	v_add_co_ci_u32_e32 v3, vcc_lo, 0, v3, vcc_lo
	v_cmp_ne_u32_e32 vcc_lo, 0, v14
	v_lshlrev_b32_e32 v19, v29, v27
	v_lshrrev_b32_e32 v21, 16, v20
	v_lshrrev_b32_e32 v20, 8, v13
	v_add_nc_u32_e32 v26, 0xfffffc10, v26
	v_cndmask_b32_e64 v14, 0, 1, vcc_lo
	v_cmp_gt_i32_e32 vcc_lo, 31, v10
	v_mul_f16_sdwa v4, v84, v4 dst_sel:DWORD dst_unused:UNUSED_PAD src0_sel:WORD_1 src1_sel:DWORD
	v_and_or_b32 v8, 0x8000, v21, v8
	v_lshl_or_b32 v30, v26, 12, v17
	v_lshl_or_b32 v14, v14, 9, 0x7c00
	v_cndmask_b32_e32 v3, 0x7c00, v3, vcc_lo
	v_cmp_ne_u32_e32 vcc_lo, v19, v28
	v_bfe_u32 v28, v13, 20, 11
	v_fma_f16 v4, v84, v25, -v4
	v_and_b32_e32 v8, 0xffff, v8
	v_lshrrev_b32_e32 v13, 16, v13
	v_cndmask_b32_e64 v19, 0, 1, vcc_lo
	v_cmp_ne_u32_e32 vcc_lo, 0, v12
	v_sub_nc_u32_e32 v29, 0x3f1, v28
	v_cvt_f32_f16_e32 v4, v4
	v_or_b32_e32 v27, v27, v19
	v_cndmask_b32_e64 v12, 0, 1, vcc_lo
	v_cmp_eq_u32_e32 vcc_lo, 0x40f, v10
	v_and_or_b32 v12, 0xffe, v20, v12
	v_mul_f64 v[19:20], v[23:24], s[2:3]
	v_cndmask_b32_e32 v3, v3, v14, vcc_lo
	v_cmp_gt_i32_e32 vcc_lo, 1, v26
	v_med3_i32 v24, v29, 0, 13
	v_or_b32_e32 v23, 0x1000, v12
	v_lshrrev_b32_e32 v14, 16, v22
	v_cndmask_b32_e32 v10, v30, v27, vcc_lo
	v_lshrrev_b32_e32 v30, 16, v16
	v_lshrrev_b32_e32 v21, v24, v23
	v_and_or_b32 v14, 0x8000, v14, v3
	v_cvt_f64_f32_e32 v[3:4], v4
	v_and_b32_e32 v22, 7, v10
	v_lshrrev_b32_e32 v10, 2, v10
	v_lshlrev_b32_e32 v24, v24, v21
	v_lshl_or_b32 v8, v14, 16, v8
	v_cmp_lt_i32_e32 vcc_lo, 5, v22
	v_cmp_eq_u32_e64 s0, 3, v22
	v_cmp_ne_u32_e64 s1, v24, v23
	v_add_nc_u32_e32 v23, 0xfffffc10, v28
	v_and_or_b32 v14, 0x1ff, v20, v19
	s_or_b32 vcc_lo, s0, vcc_lo
	v_cndmask_b32_e64 v19, 0, 1, s1
	v_add_co_ci_u32_e32 v10, vcc_lo, 0, v10, vcc_lo
	v_cmp_ne_u32_e32 vcc_lo, 0, v14
	v_bfe_u32 v24, v20, 20, 11
	v_or_b32_e32 v19, v21, v19
	v_lshrrev_b32_e32 v21, 8, v20
	v_lshl_or_b32 v22, v23, 12, v12
	v_cndmask_b32_e64 v14, 0, 1, vcc_lo
	v_cmp_ne_u32_e32 vcc_lo, 0, v17
	v_mul_f64 v[3:4], v[3:4], s[2:3]
	v_cmp_eq_u32_e64 s1, 0x40f, v23
	v_lshrrev_b32_e32 v20, 16, v20
	v_and_or_b32 v14, 0xffe, v21, v14
	v_cndmask_b32_e64 v17, 0, 1, vcc_lo
	v_cmp_gt_i32_e32 vcc_lo, 1, v23
	v_sub_nc_u32_e32 v21, 0x3f1, v24
	v_add_nc_u32_e32 v24, 0xfffffc10, v24
	v_or_b32_e32 v25, 0x1000, v14
	v_lshl_or_b32 v17, v17, 9, 0x7c00
	v_cndmask_b32_e32 v19, v22, v19, vcc_lo
	v_cmp_gt_i32_e32 vcc_lo, 31, v26
	v_med3_i32 v27, v21, 0, 13
	v_mad_u64_u32 v[21:22], null, 0xffffcf40, s8, v[5:6]
	v_and_b32_e32 v28, 7, v19
	v_cndmask_b32_e32 v10, 0x7c00, v10, vcc_lo
	v_cmp_eq_u32_e32 vcc_lo, 0x40f, v26
	v_lshrrev_b32_e32 v29, v27, v25
	v_lshrrev_b32_e32 v19, 2, v19
	v_cmp_eq_u32_e64 s0, 3, v28
	v_add_nc_u32_e32 v22, s6, v22
	v_cndmask_b32_e32 v10, v10, v17, vcc_lo
	v_cmp_lt_i32_e32 vcc_lo, 5, v28
	v_lshlrev_b32_e32 v26, v27, v29
	v_lshrrev_b32_e32 v17, 16, v18
	v_mul_f16_sdwa v18, v83, v30 dst_sel:DWORD dst_unused:UNUSED_PAD src0_sel:WORD_1 src1_sel:DWORD
	v_and_or_b32 v3, 0x1ff, v4, v3
	s_or_b32 vcc_lo, s0, vcc_lo
	v_lshl_or_b32 v28, v24, 12, v14
	v_add_co_ci_u32_e32 v19, vcc_lo, 0, v19, vcc_lo
	v_cmp_ne_u32_e32 vcc_lo, v26, v25
	v_fmac_f16_e32 v18, v83, v16
	v_and_or_b32 v10, 0x8000, v17, v10
	v_lshrrev_b32_e32 v25, 8, v4
	v_bfe_u32 v26, v4, 20, 11
	v_cndmask_b32_e64 v17, 0, 1, vcc_lo
	v_cmp_ne_u32_e32 vcc_lo, 0, v3
	v_cvt_f32_f16_e32 v18, v18
	v_mul_f16_sdwa v16, v83, v16 dst_sel:DWORD dst_unused:UNUSED_PAD src0_sel:WORD_1 src1_sel:DWORD
	v_and_b32_e32 v10, 0xffff, v10
	v_or_b32_e32 v27, v29, v17
	v_cndmask_b32_e64 v3, 0, 1, vcc_lo
	v_cvt_f64_f32_e32 v[17:18], v18
	v_cmp_gt_i32_e32 vcc_lo, 1, v24
	v_fma_f16 v16, v83, v30, -v16
	global_store_dword v[5:6], v1, off
	global_store_dword v[21:22], v8, off
	v_and_or_b32 v3, 0xffe, v25, v3
	v_sub_nc_u32_e32 v25, 0x3f1, v26
	v_cndmask_b32_e32 v27, v28, v27, vcc_lo
	v_cmp_ne_u32_e32 vcc_lo, 0, v12
	v_add_nc_u32_e32 v26, 0xfffffc10, v26
	v_or_b32_e32 v28, 0x1000, v3
	v_med3_i32 v25, v25, 0, 13
	v_and_b32_e32 v29, 7, v27
	v_cndmask_b32_e64 v12, 0, 1, vcc_lo
	v_cmp_gt_i32_e32 vcc_lo, 31, v23
	v_lshrrev_b32_e32 v1, 16, v2
	v_lshrrev_b32_e32 v30, v25, v28
	v_cmp_eq_u32_e64 s0, 3, v29
	v_lshl_or_b32 v12, v12, 9, 0x7c00
	v_cndmask_b32_e32 v19, 0x7c00, v19, vcc_lo
	v_cmp_lt_i32_e32 vcc_lo, 5, v29
	v_cvt_f32_f16_e32 v29, v16
	v_lshlrev_b32_e32 v23, v25, v30
	v_lshrrev_b32_e32 v25, 2, v27
	v_mul_f64 v[16:17], v[17:18], s[2:3]
	s_or_b32 vcc_lo, s0, vcc_lo
	v_cndmask_b32_e64 v12, v19, v12, s1
	v_cvt_f64_f32_e32 v[18:19], v29
	v_add_co_ci_u32_e32 v25, vcc_lo, 0, v25, vcc_lo
	v_cmp_ne_u32_e32 vcc_lo, v23, v28
	v_lshl_or_b32 v27, v26, 12, v3
	v_and_or_b32 v28, 0x8000, v13, v12
	v_cndmask_b32_e64 v23, 0, 1, vcc_lo
	v_cmp_ne_u32_e32 vcc_lo, 0, v14
	v_lshl_or_b32 v8, v28, 16, v10
	v_or_b32_e32 v23, v30, v23
	v_cndmask_b32_e64 v14, 0, 1, vcc_lo
	v_cmp_gt_i32_e32 vcc_lo, 31, v24
	v_and_or_b32 v16, 0x1ff, v17, v16
	v_cndmask_b32_e32 v25, 0x7c00, v25, vcc_lo
	v_cmp_gt_i32_e32 vcc_lo, 1, v26
	v_mul_f64 v[12:13], v[18:19], s[2:3]
	v_lshl_or_b32 v14, v14, 9, 0x7c00
	v_cmp_ne_u32_e64 s0, 0, v16
	v_lshrrev_b32_e32 v6, 8, v17
	v_cndmask_b32_e32 v23, v27, v23, vcc_lo
	v_cmp_eq_u32_e32 vcc_lo, 0x40f, v24
	v_bfe_u32 v10, v17, 20, 11
	v_cndmask_b32_e64 v5, 0, 1, s0
	v_mul_f16_sdwa v16, v82, v1 dst_sel:DWORD dst_unused:UNUSED_PAD src0_sel:WORD_1 src1_sel:DWORD
	v_and_b32_e32 v24, 7, v23
	v_cndmask_b32_e32 v14, v25, v14, vcc_lo
	v_lshrrev_b32_e32 v18, 2, v23
	v_and_or_b32 v19, 0xffe, v6, v5
	v_sub_nc_u32_e32 v5, 0x3f1, v10
	v_cmp_lt_i32_e32 vcc_lo, 5, v24
	v_cmp_eq_u32_e64 s0, 3, v24
	v_fmac_f16_e32 v16, v82, v2
	v_or_b32_e32 v23, 0x1000, v19
	v_med3_i32 v24, v5, 0, 13
	v_and_or_b32 v14, 0x8000, v20, v14
	s_or_b32 vcc_lo, s0, vcc_lo
	v_cvt_f32_f16_e32 v5, v16
	v_add_co_ci_u32_e32 v18, vcc_lo, 0, v18, vcc_lo
	v_cmp_ne_u32_e32 vcc_lo, 0, v3
	v_and_or_b32 v12, 0x1ff, v13, v12
	v_lshrrev_b32_e32 v16, v24, v23
	v_cvt_f64_f32_e32 v[5:6], v5
	v_lshrrev_b32_e32 v25, 8, v13
	v_cndmask_b32_e64 v3, 0, 1, vcc_lo
	v_cmp_gt_i32_e32 vcc_lo, 31, v26
	v_bfe_u32 v27, v13, 20, 11
	v_lshlrev_b32_e32 v24, v24, v16
	v_add_nc_u32_e32 v10, 0xfffffc10, v10
	v_lshl_or_b32 v3, v3, 9, 0x7c00
	v_cndmask_b32_e32 v18, 0x7c00, v18, vcc_lo
	v_cmp_ne_u32_e32 vcc_lo, 0, v12
	v_sub_nc_u32_e32 v20, 0x3f1, v27
	v_mul_f16_sdwa v2, v82, v2 dst_sel:DWORD dst_unused:UNUSED_PAD src0_sel:WORD_1 src1_sel:DWORD
	v_and_b32_e32 v14, 0xffff, v14
	v_lshrrev_b32_e32 v17, 16, v17
	v_cndmask_b32_e64 v12, 0, 1, vcc_lo
	v_cmp_ne_u32_e32 vcc_lo, v24, v23
	v_med3_i32 v20, v20, 0, 13
	v_and_or_b32 v12, 0xffe, v25, v12
	v_cndmask_b32_e64 v23, 0, 1, vcc_lo
	v_cmp_eq_u32_e32 vcc_lo, 0x40f, v26
	v_lshrrev_b32_e32 v25, 16, v4
	v_or_b32_e32 v24, 0x1000, v12
	v_or_b32_e32 v16, v16, v23
	v_cndmask_b32_e32 v18, v18, v3, vcc_lo
	v_lshl_or_b32 v23, v10, 12, v19
	v_cmp_gt_i32_e32 vcc_lo, 1, v10
	v_lshrrev_b32_e32 v26, v20, v24
	v_mul_f64 v[3:4], v[5:6], s[2:3]
	v_fma_f16 v6, v82, v1, -v2
	v_and_or_b32 v18, 0x8000, v25, v18
	v_cndmask_b32_e32 v16, v23, v16, vcc_lo
	v_lshlrev_b32_e32 v5, v20, v26
	v_add_co_u32 v1, vcc_lo, v21, s5
	v_add_co_ci_u32_e32 v2, vcc_lo, s4, v22, vcc_lo
	v_and_b32_e32 v20, 7, v16
	v_cmp_ne_u32_e64 s0, v5, v24
	v_cvt_f32_f16_e32 v6, v6
	v_lshrrev_b32_e32 v16, 2, v16
	v_add_nc_u32_e32 v22, 0xfffffc10, v27
	v_cmp_lt_i32_e32 vcc_lo, 5, v20
	v_cndmask_b32_e64 v21, 0, 1, s0
	v_cmp_eq_u32_e64 s0, 3, v20
	v_cvt_f64_f32_e32 v[5:6], v6
	v_lshl_or_b32 v14, v18, 16, v14
	global_store_dword v[1:2], v8, off
	v_or_b32_e32 v20, v26, v21
	s_or_b32 vcc_lo, s0, vcc_lo
	v_lshl_or_b32 v21, v22, 12, v12
	v_add_co_ci_u32_e32 v16, vcc_lo, 0, v16, vcc_lo
	v_cmp_ne_u32_e32 vcc_lo, 0, v19
	v_and_or_b32 v3, 0x1ff, v4, v3
	v_bfe_u32 v23, v4, 20, 11
	v_cndmask_b32_e64 v19, 0, 1, vcc_lo
	v_cmp_gt_i32_e32 vcc_lo, 1, v22
	v_lshl_or_b32 v18, v19, 9, 0x7c00
	v_cndmask_b32_e32 v20, v21, v20, vcc_lo
	v_cmp_gt_i32_e32 vcc_lo, 31, v10
	v_lshrrev_b32_e32 v21, 8, v4
	v_mul_f64 v[5:6], v[5:6], s[2:3]
	v_lshrrev_b32_e32 v4, 16, v4
	v_and_b32_e32 v19, 7, v20
	v_cndmask_b32_e32 v16, 0x7c00, v16, vcc_lo
	v_cmp_ne_u32_e32 vcc_lo, 0, v3
	v_cmp_eq_u32_e64 s0, 3, v19
	v_cndmask_b32_e64 v3, 0, 1, vcc_lo
	v_cmp_eq_u32_e32 vcc_lo, 0x40f, v10
	v_and_or_b32 v3, 0xffe, v21, v3
	v_cndmask_b32_e32 v10, v16, v18, vcc_lo
	v_cmp_lt_i32_e32 vcc_lo, 5, v19
	v_lshrrev_b32_e32 v19, 2, v20
	v_lshrrev_b32_e32 v18, 16, v15
	v_sub_nc_u32_e32 v16, 0x3f1, v23
	v_or_b32_e32 v20, 0x1000, v3
	s_or_b32 vcc_lo, s0, vcc_lo
	v_and_or_b32 v5, 0x1ff, v6, v5
	v_add_co_ci_u32_e32 v19, vcc_lo, 0, v19, vcc_lo
	v_cmp_ne_u32_e32 vcc_lo, 0, v12
	v_mul_f16_sdwa v21, v81, v18 dst_sel:DWORD dst_unused:UNUSED_PAD src0_sel:WORD_1 src1_sel:DWORD
	v_med3_i32 v16, v16, 0, 13
	v_and_or_b32 v10, 0x8000, v17, v10
	v_cndmask_b32_e64 v12, 0, 1, vcc_lo
	v_cmp_gt_i32_e32 vcc_lo, 31, v22
	v_fmac_f16_e32 v21, v81, v15
	v_lshrrev_b32_e32 v24, v16, v20
	v_and_b32_e32 v10, 0xffff, v10
	v_lshl_or_b32 v12, v12, 9, 0x7c00
	v_cndmask_b32_e32 v19, 0x7c00, v19, vcc_lo
	v_cmp_eq_u32_e32 vcc_lo, 0x40f, v22
	v_cvt_f32_f16_e32 v21, v21
	v_lshlrev_b32_e32 v25, v16, v24
	v_add_nc_u32_e32 v22, 0xfffffc10, v23
	v_lshrrev_b32_e32 v23, 16, v13
	v_cndmask_b32_e32 v19, v19, v12, vcc_lo
	v_cmp_ne_u32_e32 vcc_lo, 0, v5
	v_cvt_f64_f32_e32 v[16:17], v21
	v_lshrrev_b32_e32 v12, 8, v6
	v_bfe_u32 v21, v6, 20, 11
	v_and_or_b32 v19, 0x8000, v23, v19
	v_cndmask_b32_e64 v5, 0, 1, vcc_lo
	v_cmp_ne_u32_e32 vcc_lo, v25, v20
	v_mul_f16_sdwa v15, v81, v15 dst_sel:DWORD dst_unused:UNUSED_PAD src0_sel:WORD_1 src1_sel:DWORD
	v_lshrrev_b32_e32 v6, 16, v6
	v_lshl_or_b32 v8, v19, 16, v10
	v_and_or_b32 v5, 0xffe, v12, v5
	v_sub_nc_u32_e32 v12, 0x3f1, v21
	v_cndmask_b32_e64 v20, 0, 1, vcc_lo
	v_or_b32_e32 v25, 0x1000, v5
	v_med3_i32 v26, v12, 0, 13
	v_add_co_u32 v12, vcc_lo, v1, s5
	v_add_co_ci_u32_e32 v13, vcc_lo, s4, v2, vcc_lo
	v_or_b32_e32 v20, v24, v20
	v_lshl_or_b32 v24, v22, 12, v3
	v_cmp_gt_i32_e32 vcc_lo, 1, v22
	v_mul_f64 v[16:17], v[16:17], s[2:3]
	v_lshrrev_b32_e32 v23, v26, v25
	v_fma_f16 v1, v81, v18, -v15
	global_store_dword v[12:13], v14, off
	v_cndmask_b32_e32 v20, v24, v20, vcc_lo
	v_add_nc_u32_e32 v18, 0xfffffc10, v21
	v_lshlrev_b32_e32 v10, v26, v23
	v_cvt_f32_f16_e32 v1, v1
	v_lshrrev_b32_e32 v21, 16, v7
	v_and_b32_e32 v2, 7, v20
	v_lshrrev_b32_e32 v14, 2, v20
	v_cmp_ne_u32_e64 s1, v10, v25
	v_cmp_lt_i32_e32 vcc_lo, 5, v2
	v_cmp_eq_u32_e64 s0, 3, v2
	v_cndmask_b32_e64 v10, 0, 1, s1
	v_cvt_f64_f32_e32 v[1:2], v1
	v_cmp_eq_u32_e64 s1, 0x40f, v22
	s_or_b32 vcc_lo, s0, vcc_lo
	v_or_b32_e32 v10, v23, v10
	v_add_co_ci_u32_e32 v14, vcc_lo, 0, v14, vcc_lo
	v_cmp_ne_u32_e32 vcc_lo, 0, v3
	v_and_or_b32 v15, 0x1ff, v17, v16
	v_lshl_or_b32 v16, v18, 12, v5
	v_bfe_u32 v19, v17, 20, 11
	v_mul_f16_sdwa v23, v80, v21 dst_sel:DWORD dst_unused:UNUSED_PAD src0_sel:WORD_1 src1_sel:DWORD
	v_cndmask_b32_e64 v3, 0, 1, vcc_lo
	v_add_co_u32 v12, vcc_lo, v12, s5
	v_add_co_ci_u32_e32 v13, vcc_lo, s4, v13, vcc_lo
	v_cmp_gt_i32_e32 vcc_lo, 1, v18
	v_lshl_or_b32 v3, v3, 9, 0x7c00
	v_fmac_f16_e32 v23, v80, v7
	global_store_dword v[12:13], v8, off
	v_cndmask_b32_e32 v10, v16, v10, vcc_lo
	v_cmp_gt_i32_e32 vcc_lo, 31, v22
	v_lshrrev_b32_e32 v16, 8, v17
	v_mul_f64 v[1:2], v[1:2], s[2:3]
	v_lshrrev_b32_e32 v17, 16, v17
	v_and_b32_e32 v20, 7, v10
	v_cndmask_b32_e32 v14, 0x7c00, v14, vcc_lo
	v_cmp_ne_u32_e32 vcc_lo, 0, v15
	v_lshrrev_b32_e32 v10, 2, v10
	v_cmp_eq_u32_e64 s0, 3, v20
	v_cndmask_b32_e64 v3, v14, v3, s1
	v_cndmask_b32_e64 v15, 0, 1, vcc_lo
	v_cmp_lt_i32_e32 vcc_lo, 5, v20
	v_cvt_f32_f16_e32 v14, v23
	v_and_or_b32 v16, 0xffe, v16, v15
	v_sub_nc_u32_e32 v15, 0x3f1, v19
	s_or_b32 vcc_lo, s0, vcc_lo
	v_add_nc_u32_e32 v19, 0xfffffc10, v19
	v_add_co_ci_u32_e32 v10, vcc_lo, 0, v10, vcc_lo
	v_or_b32_e32 v20, 0x1000, v16
	v_med3_i32 v15, v15, 0, 13
	v_cmp_ne_u32_e32 vcc_lo, 0, v5
	v_and_or_b32 v1, 0x1ff, v2, v1
	v_bfe_u32 v24, v2, 20, 11
	v_lshrrev_b32_e32 v22, v15, v20
	v_cndmask_b32_e64 v5, 0, 1, vcc_lo
	v_cmp_gt_i32_e32 vcc_lo, 31, v18
	v_lshlrev_b32_e32 v23, v15, v22
	v_cvt_f64_f32_e32 v[14:15], v14
	v_cndmask_b32_e32 v10, 0x7c00, v10, vcc_lo
	v_lshl_or_b32 v5, v5, 9, 0x7c00
	v_cmp_ne_u32_e32 vcc_lo, v23, v20
	v_lshrrev_b32_e32 v23, 8, v2
	v_lshrrev_b32_e32 v2, 16, v2
	v_cndmask_b32_e64 v20, 0, 1, vcc_lo
	v_cmp_ne_u32_e32 vcc_lo, 0, v1
	v_or_b32_e32 v20, v22, v20
	v_cndmask_b32_e64 v1, 0, 1, vcc_lo
	v_cmp_eq_u32_e32 vcc_lo, 0x40f, v18
	v_lshl_or_b32 v22, v19, 12, v16
	v_and_or_b32 v1, 0xffe, v23, v1
	v_sub_nc_u32_e32 v23, 0x3f1, v24
	v_cndmask_b32_e32 v5, v10, v5, vcc_lo
	v_cmp_gt_i32_e32 vcc_lo, 1, v19
	v_or_b32_e32 v18, 0x1000, v1
	v_and_or_b32 v5, 0x8000, v6, v5
	v_cndmask_b32_e32 v10, v22, v20, vcc_lo
	v_med3_i32 v20, v23, 0, 13
	v_and_or_b32 v22, 0x8000, v4, v3
	v_mul_f64 v[3:4], v[14:15], s[2:3]
	v_mul_f16_sdwa v6, v80, v7 dst_sel:DWORD dst_unused:UNUSED_PAD src0_sel:WORD_1 src1_sel:DWORD
	v_and_b32_e32 v7, 7, v10
	v_lshrrev_b32_e32 v14, v20, v18
	v_and_b32_e32 v15, 0xffff, v22
	v_fma_f16 v6, v80, v21, -v6
	v_cmp_lt_i32_e32 vcc_lo, 5, v7
	v_lshlrev_b32_e32 v8, v20, v14
	v_cmp_eq_u32_e64 s0, 3, v7
	v_lshrrev_b32_e32 v7, 2, v10
	v_add_nc_u32_e32 v10, 0xfffffc10, v24
	v_lshl_or_b32 v15, v5, 16, v15
	v_cmp_ne_u32_e64 s1, v8, v18
	s_or_b32 vcc_lo, s0, vcc_lo
	v_cvt_f32_f16_e32 v5, v6
	v_add_co_ci_u32_e32 v7, vcc_lo, 0, v7, vcc_lo
	v_cndmask_b32_e64 v8, 0, 1, s1
	v_cmp_ne_u32_e32 vcc_lo, 0, v16
	v_cvt_f64_f32_e32 v[5:6], v5
	v_lshrrev_b32_e32 v21, 16, v9
	v_and_or_b32 v3, 0x1ff, v4, v3
	v_or_b32_e32 v8, v14, v8
	v_lshl_or_b32 v14, v10, 12, v1
	v_cndmask_b32_e64 v16, 0, 1, vcc_lo
	v_cmp_gt_i32_e32 vcc_lo, 1, v10
	v_bfe_u32 v18, v4, 20, 11
	v_lshl_or_b32 v16, v16, 9, 0x7c00
	v_cndmask_b32_e32 v8, v14, v8, vcc_lo
	v_cmp_ne_u32_e32 vcc_lo, 0, v3
	v_lshrrev_b32_e32 v14, 8, v4
	v_and_b32_e32 v20, 7, v8
	v_cndmask_b32_e64 v3, 0, 1, vcc_lo
	v_cmp_gt_i32_e32 vcc_lo, 31, v19
	v_lshrrev_b32_e32 v8, 2, v8
	v_cmp_eq_u32_e64 s0, 3, v20
	v_and_or_b32 v14, 0xffe, v14, v3
	v_cndmask_b32_e32 v22, 0x7c00, v7, vcc_lo
	v_mul_f16_sdwa v7, v79, v21 dst_sel:DWORD dst_unused:UNUSED_PAD src0_sel:WORD_1 src1_sel:DWORD
	v_cmp_lt_i32_e32 vcc_lo, 5, v20
	v_sub_nc_u32_e32 v3, 0x3f1, v18
	v_mul_f64 v[5:6], v[5:6], s[2:3]
	v_or_b32_e32 v23, 0x1000, v14
	v_fmac_f16_e32 v7, v79, v9
	s_or_b32 vcc_lo, s0, vcc_lo
	v_med3_i32 v3, v3, 0, 13
	v_add_co_ci_u32_e32 v24, vcc_lo, 0, v8, vcc_lo
	v_cvt_f32_f16_e32 v7, v7
	v_add_co_u32 v12, vcc_lo, v12, s5
	v_add_co_ci_u32_e32 v13, vcc_lo, s4, v13, vcc_lo
	v_cmp_ne_u32_e32 vcc_lo, 0, v1
	v_cvt_f64_f32_e32 v[7:8], v7
	v_lshrrev_b32_e32 v20, v3, v23
	v_add_nc_u32_e32 v18, 0xfffffc10, v18
	global_store_dword v[12:13], v15, off
	v_cndmask_b32_e64 v1, 0, 1, vcc_lo
	v_cmp_eq_u32_e32 vcc_lo, 0x40f, v19
	v_lshlrev_b32_e32 v3, v3, v20
	v_and_or_b32 v5, 0x1ff, v6, v5
	v_cndmask_b32_e32 v16, v22, v16, vcc_lo
	v_cmp_gt_i32_e32 vcc_lo, 31, v10
	v_lshl_or_b32 v1, v1, 9, 0x7c00
	v_and_or_b32 v16, 0x8000, v17, v16
	v_cndmask_b32_e32 v19, 0x7c00, v24, vcc_lo
	v_cmp_ne_u32_e32 vcc_lo, v3, v23
	v_cndmask_b32_e64 v3, 0, 1, vcc_lo
	v_cmp_eq_u32_e32 vcc_lo, 0x40f, v10
	v_mul_f64 v[7:8], v[7:8], s[2:3]
	v_lshrrev_b32_e32 v10, 8, v6
	v_or_b32_e32 v3, v20, v3
	v_cndmask_b32_e32 v1, v19, v1, vcc_lo
	v_cmp_ne_u32_e32 vcc_lo, 0, v5
	v_bfe_u32 v19, v6, 20, 11
	v_lshl_or_b32 v20, v18, 12, v14
	v_lshrrev_b32_e32 v6, 16, v6
	v_and_or_b32 v1, 0x8000, v2, v1
	v_cndmask_b32_e64 v5, 0, 1, vcc_lo
	v_cmp_gt_i32_e32 vcc_lo, 1, v18
	v_and_or_b32 v5, 0xffe, v10, v5
	v_sub_nc_u32_e32 v10, 0x3f1, v19
	v_cndmask_b32_e32 v17, v20, v3, vcc_lo
	v_mul_f16_sdwa v3, v79, v9 dst_sel:DWORD dst_unused:UNUSED_PAD src0_sel:WORD_1 src1_sel:DWORD
	v_and_b32_e32 v9, 0xffff, v16
	v_or_b32_e32 v20, 0x1000, v5
	v_med3_i32 v2, v10, 0, 13
	v_and_or_b32 v7, 0x1ff, v8, v7
	v_fma_f16 v16, v79, v21, -v3
	v_and_b32_e32 v10, 7, v17
	v_lshl_or_b32 v3, v1, 16, v9
	v_lshrrev_b32_e32 v15, v2, v20
	v_add_co_u32 v1, s1, v12, s5
	v_cvt_f32_f16_e32 v9, v16
	v_cmp_lt_i32_e32 vcc_lo, 5, v10
	v_lshlrev_b32_e32 v21, v2, v15
	v_add_co_ci_u32_e64 v2, s1, s4, v13, s1
	v_cmp_ne_u32_e64 s1, 0, v7
	v_cmp_eq_u32_e64 s0, 3, v10
	v_cvt_f64_f32_e32 v[9:10], v9
	v_lshrrev_b32_e32 v12, 2, v17
	v_lshrrev_b32_e32 v13, 8, v8
	v_cndmask_b32_e64 v7, 0, 1, s1
	v_cmp_ne_u32_e64 s1, v21, v20
	v_bfe_u32 v16, v8, 20, 11
	v_add_nc_u32_e32 v19, 0xfffffc10, v19
	s_or_b32 vcc_lo, s0, vcc_lo
	v_and_or_b32 v7, 0xffe, v13, v7
	v_cndmask_b32_e64 v17, 0, 1, s1
	v_add_co_ci_u32_e32 v12, vcc_lo, 0, v12, vcc_lo
	v_sub_nc_u32_e32 v13, 0x3f1, v16
	v_cmp_gt_i32_e32 vcc_lo, 1, v19
	v_or_b32_e32 v15, v15, v17
	v_lshl_or_b32 v17, v19, 12, v5
	v_or_b32_e32 v20, 0x1000, v7
	v_med3_i32 v13, v13, 0, 13
	v_lshrrev_b32_e32 v21, 16, v0
	v_cmp_eq_u32_e64 s1, 0x40f, v18
	v_cndmask_b32_e32 v15, v17, v15, vcc_lo
	v_cmp_ne_u32_e32 vcc_lo, 0, v14
	v_mul_f64 v[9:10], v[9:10], s[2:3]
	v_lshrrev_b32_e32 v17, v13, v20
	v_mul_f16_sdwa v22, v78, v21 dst_sel:DWORD dst_unused:UNUSED_PAD src0_sel:WORD_1 src1_sel:DWORD
	v_and_b32_e32 v23, 7, v15
	v_cndmask_b32_e64 v14, 0, 1, vcc_lo
	v_cmp_gt_i32_e32 vcc_lo, 31, v18
	v_lshlrev_b32_e32 v13, v13, v17
	v_fmac_f16_e32 v22, v78, v0
	v_cmp_eq_u32_e64 s0, 3, v23
	v_lshl_or_b32 v14, v14, 9, 0x7c00
	v_cndmask_b32_e32 v12, 0x7c00, v12, vcc_lo
	v_cmp_lt_i32_e32 vcc_lo, 5, v23
	v_lshrrev_b32_e32 v15, 2, v15
	v_add_nc_u32_e32 v16, 0xfffffc10, v16
	v_mul_f16_sdwa v0, v78, v0 dst_sel:DWORD dst_unused:UNUSED_PAD src0_sel:WORD_1 src1_sel:DWORD
	v_cndmask_b32_e64 v14, v12, v14, s1
	v_cmp_ne_u32_e64 s1, v13, v20
	v_cvt_f32_f16_e32 v12, v22
	s_or_b32 vcc_lo, s0, vcc_lo
	v_lshrrev_b32_e32 v20, 16, v4
	v_add_co_ci_u32_e32 v15, vcc_lo, 0, v15, vcc_lo
	v_cndmask_b32_e64 v18, 0, 1, s1
	v_cmp_ne_u32_e32 vcc_lo, 0, v5
	v_cvt_f64_f32_e32 v[12:13], v12
	v_and_or_b32 v9, 0x1ff, v10, v9
	v_and_or_b32 v14, 0x8000, v20, v14
	v_or_b32_e32 v17, v17, v18
	v_lshl_or_b32 v18, v16, 12, v7
	v_cndmask_b32_e64 v4, 0, 1, vcc_lo
	v_cmp_gt_i32_e32 vcc_lo, 1, v16
	v_fma_f16 v0, v78, v21, -v0
	v_and_b32_e32 v14, 0xffff, v14
	v_lshl_or_b32 v22, v4, 9, 0x7c00
	v_cndmask_b32_e32 v17, v18, v17, vcc_lo
	v_cmp_ne_u32_e32 vcc_lo, 0, v9
	v_lshrrev_b32_e32 v9, 8, v10
	v_bfe_u32 v18, v10, 20, 11
	v_cvt_f32_f16_e32 v0, v0
	v_and_b32_e32 v23, 7, v17
	v_cndmask_b32_e64 v5, 0, 1, vcc_lo
	v_cmp_gt_i32_e32 vcc_lo, 31, v19
	v_sub_nc_u32_e32 v24, 0x3f1, v18
	v_lshrrev_b32_e32 v10, 16, v10
	v_cmp_eq_u32_e64 s0, 3, v23
	v_and_or_b32 v9, 0xffe, v9, v5
	v_cndmask_b32_e32 v15, 0x7c00, v15, vcc_lo
	v_cmp_eq_u32_e32 vcc_lo, 0x40f, v19
	v_mul_f64 v[4:5], v[12:13], s[2:3]
	v_or_b32_e32 v13, 0x1000, v9
	v_cndmask_b32_e32 v12, v15, v22, vcc_lo
	v_med3_i32 v15, v24, 0, 13
	v_cmp_lt_i32_e32 vcc_lo, 5, v23
	v_and_or_b32 v6, 0x8000, v6, v12
	v_lshrrev_b32_e32 v12, 2, v17
	v_lshrrev_b32_e32 v19, v15, v13
	s_or_b32 vcc_lo, s0, vcc_lo
	v_lshl_or_b32 v20, v6, 16, v14
	v_add_co_ci_u32_e32 v12, vcc_lo, 0, v12, vcc_lo
	v_lshlrev_b32_e32 v15, v15, v19
	v_cmp_ne_u32_e32 vcc_lo, 0, v7
	v_cvt_f64_f32_e32 v[6:7], v0
	v_and_or_b32 v4, 0x1ff, v5, v4
	v_cndmask_b32_e64 v17, 0, 1, vcc_lo
	v_cmp_ne_u32_e32 vcc_lo, v15, v13
	v_add_nc_u32_e32 v15, 0xfffffc10, v18
	v_lshrrev_b32_e32 v14, 8, v5
	v_bfe_u32 v18, v5, 20, 11
	v_lshrrev_b32_e32 v5, 16, v5
	v_cndmask_b32_e64 v13, 0, 1, vcc_lo
	v_cmp_gt_i32_e32 vcc_lo, 31, v16
	v_or_b32_e32 v13, v19, v13
	v_cndmask_b32_e32 v12, 0x7c00, v12, vcc_lo
	v_cmp_ne_u32_e32 vcc_lo, 0, v4
	v_lshrrev_b32_e32 v4, 16, v11
	v_lshl_or_b32 v19, v15, 12, v9
	v_cndmask_b32_e64 v0, 0, 1, vcc_lo
	v_cmp_gt_i32_e32 vcc_lo, 1, v15
	v_mul_f16_sdwa v21, v77, v4 dst_sel:DWORD dst_unused:UNUSED_PAD src0_sel:WORD_1 src1_sel:DWORD
	v_mul_f64 v[6:7], v[6:7], s[2:3]
	v_and_or_b32 v0, 0xffe, v14, v0
	v_sub_nc_u32_e32 v14, 0x3f1, v18
	v_cndmask_b32_e32 v19, v19, v13, vcc_lo
	v_fmac_f16_e32 v21, v77, v11
	v_lshl_or_b32 v13, v17, 9, 0x7c00
	v_or_b32_e32 v17, 0x1000, v0
	v_med3_i32 v14, v14, 0, 13
	v_and_b32_e32 v22, 7, v19
	v_cmp_eq_u32_e32 vcc_lo, 0x40f, v16
	v_cvt_f32_f16_e32 v21, v21
	v_mul_f16_sdwa v11, v77, v11 dst_sel:DWORD dst_unused:UNUSED_PAD src0_sel:WORD_1 src1_sel:DWORD
	v_lshrrev_b32_e32 v23, v14, v17
	v_cmp_eq_u32_e64 s0, 3, v22
	v_cndmask_b32_e32 v16, v12, v13, vcc_lo
	v_cmp_lt_i32_e32 vcc_lo, 5, v22
	v_cvt_f64_f32_e32 v[12:13], v21
	v_lshrrev_b32_e32 v21, 16, v8
	v_lshrrev_b32_e32 v8, 2, v19
	v_lshlrev_b32_e32 v14, v14, v23
	s_or_b32 vcc_lo, s0, vcc_lo
	v_fma_f16 v4, v77, v4, -v11
	v_and_or_b32 v6, 0x1ff, v7, v6
	v_add_co_ci_u32_e32 v11, vcc_lo, 0, v8, vcc_lo
	v_cmp_ne_u32_e32 vcc_lo, v14, v17
	v_cvt_f32_f16_e32 v4, v4
	v_add_nc_u32_e32 v17, 0xfffffc10, v18
	v_and_or_b32 v16, 0x8000, v21, v16
	v_cndmask_b32_e64 v8, 0, 1, vcc_lo
	v_cmp_ne_u32_e32 vcc_lo, 0, v9
	v_lshl_or_b32 v19, v17, 12, v0
	v_and_b32_e32 v16, 0xffff, v16
	v_or_b32_e32 v18, v23, v8
	v_cndmask_b32_e64 v14, 0, 1, vcc_lo
	v_cmp_gt_i32_e32 vcc_lo, 31, v15
	v_cvt_f64_f32_e32 v[8:9], v4
	v_lshl_or_b32 v22, v14, 9, 0x7c00
	v_cndmask_b32_e32 v4, 0x7c00, v11, vcc_lo
	v_mul_f64 v[11:12], v[12:13], s[2:3]
	v_add_co_u32 v13, vcc_lo, v1, s5
	v_add_co_ci_u32_e32 v14, vcc_lo, s4, v2, vcc_lo
	v_cmp_gt_i32_e32 vcc_lo, 1, v17
	v_cndmask_b32_e32 v18, v19, v18, vcc_lo
	v_cmp_eq_u32_e32 vcc_lo, 0x40f, v15
	v_lshrrev_b32_e32 v15, 8, v7
	v_bfe_u32 v19, v7, 20, 11
	v_lshrrev_b32_e32 v7, 16, v7
	v_cndmask_b32_e32 v4, v4, v22, vcc_lo
	v_cmp_ne_u32_e32 vcc_lo, 0, v6
	v_and_b32_e32 v22, 7, v18
	v_mul_f64 v[8:9], v[8:9], s[2:3]
	v_lshrrev_b32_e32 v18, 2, v18
	v_and_or_b32 v4, 0x8000, v10, v4
	v_cndmask_b32_e64 v6, 0, 1, vcc_lo
	v_cmp_lt_i32_e32 vcc_lo, 5, v22
	v_cmp_eq_u32_e64 s0, 3, v22
	v_and_or_b32 v11, 0x1ff, v12, v11
	v_lshrrev_b32_e32 v22, 8, v12
	v_and_or_b32 v6, 0xffe, v15, v6
	v_sub_nc_u32_e32 v15, 0x3f1, v19
	s_or_b32 vcc_lo, s0, vcc_lo
	v_bfe_u32 v23, v12, 20, 11
	v_add_co_ci_u32_e32 v18, vcc_lo, 0, v18, vcc_lo
	v_or_b32_e32 v10, 0x1000, v6
	v_med3_i32 v15, v15, 0, 13
	v_cmp_ne_u32_e32 vcc_lo, 0, v11
	v_lshrrev_b32_e32 v21, v15, v10
	v_cndmask_b32_e64 v11, 0, 1, vcc_lo
	v_cmp_ne_u32_e32 vcc_lo, 0, v0
	v_and_or_b32 v8, 0x1ff, v9, v8
	v_lshrrev_b32_e32 v24, 8, v9
	v_lshlrev_b32_e32 v15, v15, v21
	v_and_or_b32 v11, 0xffe, v22, v11
	v_cndmask_b32_e64 v0, 0, 1, vcc_lo
	v_sub_nc_u32_e32 v22, 0x3f1, v23
	v_bfe_u32 v25, v9, 20, 11
	v_cmp_ne_u32_e32 vcc_lo, v15, v10
	v_add_nc_u32_e32 v15, 0xfffffc10, v19
	v_or_b32_e32 v19, 0x1000, v11
	v_med3_i32 v22, v22, 0, 13
	v_lshl_or_b32 v0, v0, 9, 0x7c00
	v_cndmask_b32_e64 v10, 0, 1, vcc_lo
	v_cmp_gt_i32_e32 vcc_lo, 31, v17
	v_lshrrev_b32_e32 v9, 16, v9
	v_lshrrev_b32_e32 v26, v22, v19
	v_or_b32_e32 v10, v21, v10
	v_cndmask_b32_e32 v18, 0x7c00, v18, vcc_lo
	v_cmp_ne_u32_e32 vcc_lo, 0, v8
	v_lshl_or_b32 v21, v15, 12, v6
	v_cndmask_b32_e64 v8, 0, 1, vcc_lo
	v_cmp_gt_i32_e32 vcc_lo, 1, v15
	v_and_or_b32 v8, 0xffe, v24, v8
	v_sub_nc_u32_e32 v24, 0x3f1, v25
	v_cndmask_b32_e32 v10, v21, v10, vcc_lo
	v_lshlrev_b32_e32 v21, v22, v26
	v_cmp_eq_u32_e32 vcc_lo, 0x40f, v17
	v_or_b32_e32 v22, 0x1000, v8
	v_med3_i32 v24, v24, 0, 13
	v_and_b32_e32 v27, 7, v10
	v_lshrrev_b32_e32 v10, 2, v10
	v_cndmask_b32_e32 v0, v18, v0, vcc_lo
	v_cmp_ne_u32_e32 vcc_lo, v21, v19
	v_add_nc_u32_e32 v18, 0xfffffc10, v23
	v_lshrrev_b32_e32 v19, v24, v22
	v_cmp_eq_u32_e64 s0, 3, v27
	v_and_or_b32 v0, 0x8000, v5, v0
	v_cndmask_b32_e64 v17, 0, 1, vcc_lo
	v_lshl_or_b32 v21, v18, 12, v11
	v_lshlrev_b32_e32 v23, v24, v19
	v_cmp_gt_i32_e64 s1, 1, v18
	v_cmp_lt_i32_e32 vcc_lo, 5, v27
	v_or_b32_e32 v17, v26, v17
	v_and_b32_e32 v0, 0xffff, v0
	s_or_b32 vcc_lo, s0, vcc_lo
	v_cndmask_b32_e64 v17, v21, v17, s1
	v_cmp_ne_u32_e64 s1, v23, v22
	v_add_nc_u32_e32 v22, 0xfffffc10, v25
	v_add_co_ci_u32_e32 v10, vcc_lo, 0, v10, vcc_lo
	v_and_b32_e32 v23, 7, v17
	v_cndmask_b32_e64 v21, 0, 1, s1
	v_cmp_ne_u32_e32 vcc_lo, 0, v6
	v_cmp_gt_i32_e64 s0, 1, v22
	v_lshrrev_b32_e32 v17, 2, v17
	v_cmp_gt_i32_e64 s1, 31, v15
	v_or_b32_e32 v19, v19, v21
	v_lshl_or_b32 v21, v22, 12, v8
	v_cndmask_b32_e64 v6, 0, 1, vcc_lo
	v_cmp_lt_i32_e32 vcc_lo, 5, v23
	v_cndmask_b32_e64 v10, 0x7c00, v10, s1
	v_cmp_eq_u32_e64 s1, 0x40f, v15
	v_cndmask_b32_e64 v5, v21, v19, s0
	v_cmp_eq_u32_e64 s0, 3, v23
	v_lshl_or_b32 v6, v6, 9, 0x7c00
	v_and_b32_e32 v19, 7, v5
	s_or_b32 vcc_lo, s0, vcc_lo
	v_lshrrev_b32_e32 v5, 2, v5
	v_add_co_ci_u32_e32 v17, vcc_lo, 0, v17, vcc_lo
	v_cmp_ne_u32_e32 vcc_lo, 0, v11
	v_cmp_eq_u32_e64 s0, 3, v19
	v_cndmask_b32_e64 v6, v10, v6, s1
	v_cmp_gt_i32_e64 s1, 31, v18
	v_cndmask_b32_e64 v11, 0, 1, vcc_lo
	v_cmp_lt_i32_e32 vcc_lo, 5, v19
	v_and_or_b32 v6, 0x8000, v7, v6
	v_cndmask_b32_e64 v10, 0x7c00, v17, s1
	v_lshl_or_b32 v11, v11, 9, 0x7c00
	s_or_b32 vcc_lo, s0, vcc_lo
	v_lshl_or_b32 v0, v6, 16, v0
	v_add_co_ci_u32_e32 v5, vcc_lo, 0, v5, vcc_lo
	v_cmp_ne_u32_e32 vcc_lo, 0, v8
	v_cndmask_b32_e64 v8, 0, 1, vcc_lo
	v_cmp_eq_u32_e32 vcc_lo, 0x40f, v18
	v_lshl_or_b32 v8, v8, 9, 0x7c00
	v_cndmask_b32_e32 v10, v10, v11, vcc_lo
	v_cmp_gt_i32_e32 vcc_lo, 31, v22
	v_lshrrev_b32_e32 v11, 16, v12
	v_lshl_or_b32 v12, v4, 16, v16
	v_cndmask_b32_e32 v5, 0x7c00, v5, vcc_lo
	v_cmp_eq_u32_e32 vcc_lo, 0x40f, v22
	v_and_or_b32 v7, 0x8000, v11, v10
	v_cndmask_b32_e32 v8, v5, v8, vcc_lo
	v_add_co_u32 v4, vcc_lo, v13, s5
	v_add_co_ci_u32_e32 v5, vcc_lo, s4, v14, vcc_lo
	v_and_or_b32 v8, 0x8000, v9, v8
	v_and_b32_e32 v9, 0xffff, v7
	v_add_co_u32 v6, vcc_lo, v4, s5
	v_add_co_ci_u32_e32 v7, vcc_lo, s4, v5, vcc_lo
	v_lshl_or_b32 v10, v8, 16, v9
	v_add_co_u32 v8, vcc_lo, v6, s5
	v_add_co_ci_u32_e32 v9, vcc_lo, s4, v7, vcc_lo
	global_store_dword v[1:2], v3, off
	global_store_dword v[13:14], v20, off
	;; [unrolled: 1-line block ×5, first 2 shown]
.LBB0_2:
	s_endpgm
	.section	.rodata,"a",@progbits
	.p2align	6, 0x0
	.amdhsa_kernel bluestein_single_back_len3600_dim1_half_op_CI_CI
		.amdhsa_group_segment_fixed_size 14400
		.amdhsa_private_segment_fixed_size 0
		.amdhsa_kernarg_size 104
		.amdhsa_user_sgpr_count 6
		.amdhsa_user_sgpr_private_segment_buffer 1
		.amdhsa_user_sgpr_dispatch_ptr 0
		.amdhsa_user_sgpr_queue_ptr 0
		.amdhsa_user_sgpr_kernarg_segment_ptr 1
		.amdhsa_user_sgpr_dispatch_id 0
		.amdhsa_user_sgpr_flat_scratch_init 0
		.amdhsa_user_sgpr_private_segment_size 0
		.amdhsa_wavefront_size32 1
		.amdhsa_uses_dynamic_stack 0
		.amdhsa_system_sgpr_private_segment_wavefront_offset 0
		.amdhsa_system_sgpr_workgroup_id_x 1
		.amdhsa_system_sgpr_workgroup_id_y 0
		.amdhsa_system_sgpr_workgroup_id_z 0
		.amdhsa_system_sgpr_workgroup_info 0
		.amdhsa_system_vgpr_workitem_id 0
		.amdhsa_next_free_vgpr 222
		.amdhsa_next_free_sgpr 20
		.amdhsa_reserve_vcc 1
		.amdhsa_reserve_flat_scratch 0
		.amdhsa_float_round_mode_32 0
		.amdhsa_float_round_mode_16_64 0
		.amdhsa_float_denorm_mode_32 3
		.amdhsa_float_denorm_mode_16_64 3
		.amdhsa_dx10_clamp 1
		.amdhsa_ieee_mode 1
		.amdhsa_fp16_overflow 0
		.amdhsa_workgroup_processor_mode 1
		.amdhsa_memory_ordered 1
		.amdhsa_forward_progress 0
		.amdhsa_shared_vgpr_count 0
		.amdhsa_exception_fp_ieee_invalid_op 0
		.amdhsa_exception_fp_denorm_src 0
		.amdhsa_exception_fp_ieee_div_zero 0
		.amdhsa_exception_fp_ieee_overflow 0
		.amdhsa_exception_fp_ieee_underflow 0
		.amdhsa_exception_fp_ieee_inexact 0
		.amdhsa_exception_int_div_zero 0
	.end_amdhsa_kernel
	.text
.Lfunc_end0:
	.size	bluestein_single_back_len3600_dim1_half_op_CI_CI, .Lfunc_end0-bluestein_single_back_len3600_dim1_half_op_CI_CI
                                        ; -- End function
	.section	.AMDGPU.csdata,"",@progbits
; Kernel info:
; codeLenInByte = 47880
; NumSgprs: 22
; NumVgprs: 222
; ScratchSize: 0
; MemoryBound: 0
; FloatMode: 240
; IeeeMode: 1
; LDSByteSize: 14400 bytes/workgroup (compile time only)
; SGPRBlocks: 2
; VGPRBlocks: 27
; NumSGPRsForWavesPerEU: 22
; NumVGPRsForWavesPerEU: 222
; Occupancy: 4
; WaveLimiterHint : 1
; COMPUTE_PGM_RSRC2:SCRATCH_EN: 0
; COMPUTE_PGM_RSRC2:USER_SGPR: 6
; COMPUTE_PGM_RSRC2:TRAP_HANDLER: 0
; COMPUTE_PGM_RSRC2:TGID_X_EN: 1
; COMPUTE_PGM_RSRC2:TGID_Y_EN: 0
; COMPUTE_PGM_RSRC2:TGID_Z_EN: 0
; COMPUTE_PGM_RSRC2:TIDIG_COMP_CNT: 0
	.text
	.p2alignl 6, 3214868480
	.fill 48, 4, 3214868480
	.type	__hip_cuid_426f73bc745976e9,@object ; @__hip_cuid_426f73bc745976e9
	.section	.bss,"aw",@nobits
	.globl	__hip_cuid_426f73bc745976e9
__hip_cuid_426f73bc745976e9:
	.byte	0                               ; 0x0
	.size	__hip_cuid_426f73bc745976e9, 1

	.ident	"AMD clang version 19.0.0git (https://github.com/RadeonOpenCompute/llvm-project roc-6.4.0 25133 c7fe45cf4b819c5991fe208aaa96edf142730f1d)"
	.section	".note.GNU-stack","",@progbits
	.addrsig
	.addrsig_sym __hip_cuid_426f73bc745976e9
	.amdgpu_metadata
---
amdhsa.kernels:
  - .args:
      - .actual_access:  read_only
        .address_space:  global
        .offset:         0
        .size:           8
        .value_kind:     global_buffer
      - .actual_access:  read_only
        .address_space:  global
        .offset:         8
        .size:           8
        .value_kind:     global_buffer
      - .actual_access:  read_only
        .address_space:  global
        .offset:         16
        .size:           8
        .value_kind:     global_buffer
      - .actual_access:  read_only
        .address_space:  global
        .offset:         24
        .size:           8
        .value_kind:     global_buffer
      - .actual_access:  read_only
        .address_space:  global
        .offset:         32
        .size:           8
        .value_kind:     global_buffer
      - .offset:         40
        .size:           8
        .value_kind:     by_value
      - .address_space:  global
        .offset:         48
        .size:           8
        .value_kind:     global_buffer
      - .address_space:  global
        .offset:         56
        .size:           8
        .value_kind:     global_buffer
      - .address_space:  global
        .offset:         64
        .size:           8
        .value_kind:     global_buffer
      - .address_space:  global
        .offset:         72
        .size:           8
        .value_kind:     global_buffer
      - .offset:         80
        .size:           4
        .value_kind:     by_value
      - .address_space:  global
        .offset:         88
        .size:           8
        .value_kind:     global_buffer
      - .address_space:  global
        .offset:         96
        .size:           8
        .value_kind:     global_buffer
    .group_segment_fixed_size: 14400
    .kernarg_segment_align: 8
    .kernarg_segment_size: 104
    .language:       OpenCL C
    .language_version:
      - 2
      - 0
    .max_flat_workgroup_size: 120
    .name:           bluestein_single_back_len3600_dim1_half_op_CI_CI
    .private_segment_fixed_size: 0
    .sgpr_count:     22
    .sgpr_spill_count: 0
    .symbol:         bluestein_single_back_len3600_dim1_half_op_CI_CI.kd
    .uniform_work_group_size: 1
    .uses_dynamic_stack: false
    .vgpr_count:     222
    .vgpr_spill_count: 0
    .wavefront_size: 32
    .workgroup_processor_mode: 1
amdhsa.target:   amdgcn-amd-amdhsa--gfx1030
amdhsa.version:
  - 1
  - 2
...

	.end_amdgpu_metadata
